;; amdgpu-corpus repo=ROCm/rocFFT kind=compiled arch=gfx1201 opt=O3
	.text
	.amdgcn_target "amdgcn-amd-amdhsa--gfx1201"
	.amdhsa_code_object_version 6
	.protected	fft_rtc_fwd_len84_factors_6_2_7_wgs_252_tpt_7_halfLds_dim2_sp_ip_CI_sbcc_twdbase8_3step_dirReg ; -- Begin function fft_rtc_fwd_len84_factors_6_2_7_wgs_252_tpt_7_halfLds_dim2_sp_ip_CI_sbcc_twdbase8_3step_dirReg
	.globl	fft_rtc_fwd_len84_factors_6_2_7_wgs_252_tpt_7_halfLds_dim2_sp_ip_CI_sbcc_twdbase8_3step_dirReg
	.p2align	8
	.type	fft_rtc_fwd_len84_factors_6_2_7_wgs_252_tpt_7_halfLds_dim2_sp_ip_CI_sbcc_twdbase8_3step_dirReg,@function
fft_rtc_fwd_len84_factors_6_2_7_wgs_252_tpt_7_halfLds_dim2_sp_ip_CI_sbcc_twdbase8_3step_dirReg: ; @fft_rtc_fwd_len84_factors_6_2_7_wgs_252_tpt_7_halfLds_dim2_sp_ip_CI_sbcc_twdbase8_3step_dirReg
; %bb.0:
	s_load_b128 s[4:7], s[0:1], 0x10
	s_mov_b32 s3, 0
	s_mov_b32 s8, 0x1c713f00
	;; [unrolled: 1-line block ×4, first 2 shown]
	s_movk_i32 s10, 0xffdc
	s_add_nc_u64 s[8:9], s[2:3], s[8:9]
	s_mov_b32 s11, -1
	s_add_co_i32 s9, s9, 0x71c71a8
	s_mov_b32 s18, -1
	s_mul_u64 s[12:13], s[8:9], s[10:11]
	s_delay_alu instid0(SALU_CYCLE_1)
	s_mul_hi_u32 s2, s8, s12
	s_mul_i32 s15, s9, s12
	s_mul_hi_u32 s14, s9, s12
	s_mul_hi_u32 s16, s9, s13
	s_mul_i32 s12, s9, s13
	s_wait_kmcnt 0x0
	s_load_b64 s[10:11], s[4:5], 0x8
	s_mul_hi_u32 s5, s8, s13
	s_mul_i32 s4, s8, s13
	s_delay_alu instid0(SALU_CYCLE_1) | instskip(NEXT) | instid1(SALU_CYCLE_1)
	s_add_nc_u64 s[4:5], s[2:3], s[4:5]
	s_add_co_u32 s2, s4, s15
	s_add_co_ci_u32 s2, s5, s14
	s_add_co_ci_u32 s13, s16, 0
	s_mov_b64 s[16:17], 0
	s_add_nc_u64 s[4:5], s[2:3], s[12:13]
	s_delay_alu instid0(SALU_CYCLE_1) | instskip(NEXT) | instid1(VALU_DEP_1)
	v_add_co_u32 v1, s2, s8, s4
	s_cmp_lg_u32 s2, 0
	s_add_co_ci_u32 s12, s9, s5
	s_delay_alu instid0(VALU_DEP_1)
	v_readfirstlane_b32 s13, v1
	s_wait_kmcnt 0x0
	s_add_nc_u64 s[4:5], s[10:11], -1
	s_wait_alu 0xfffe
	s_mul_hi_u32 s9, s4, s12
	s_mul_i32 s8, s4, s12
	s_mul_hi_u32 s2, s4, s13
	s_mul_hi_u32 s15, s5, s13
	s_mul_i32 s13, s5, s13
	s_wait_alu 0xfffe
	s_add_nc_u64 s[8:9], s[2:3], s[8:9]
	s_mul_hi_u32 s14, s5, s12
	s_wait_alu 0xfffe
	s_add_co_u32 s2, s8, s13
	s_add_co_ci_u32 s2, s9, s15
	s_mul_i32 s12, s5, s12
	s_add_co_ci_u32 s13, s14, 0
	s_delay_alu instid0(SALU_CYCLE_1) | instskip(NEXT) | instid1(SALU_CYCLE_1)
	s_add_nc_u64 s[12:13], s[2:3], s[12:13]
	s_mul_u64 s[8:9], s[12:13], 36
	s_wait_alu 0xfffe
	v_sub_co_u32 v1, s2, s4, s8
	s_delay_alu instid0(VALU_DEP_1) | instskip(SKIP_1) | instid1(VALU_DEP_1)
	s_cmp_lg_u32 s2, 0
	s_sub_co_ci_u32 s14, s5, s9
	v_sub_co_u32 v2, s4, v1, 36
	s_delay_alu instid0(VALU_DEP_1) | instskip(SKIP_2) | instid1(VALU_DEP_2)
	s_cmp_lg_u32 s4, 0
	v_readfirstlane_b32 s15, v1
	s_sub_co_ci_u32 s8, s14, 0
	v_readfirstlane_b32 s2, v2
	s_add_nc_u64 s[4:5], s[12:13], 1
	s_delay_alu instid0(VALU_DEP_1)
	s_cmp_gt_u32 s2, 35
	s_cselect_b32 s2, -1, 0
	s_wait_alu 0xfffe
	s_cmp_eq_u32 s8, 0
	s_add_nc_u64 s[8:9], s[12:13], 2
	s_cselect_b32 s2, s2, -1
	s_delay_alu instid0(SALU_CYCLE_1)
	s_cmp_lg_u32 s2, 0
	s_wait_alu 0xfffe
	s_cselect_b32 s2, s8, s4
	s_cselect_b32 s4, s9, s5
	s_cmp_gt_u32 s15, 35
	s_load_b64 s[8:9], s[6:7], 0x0
	s_cselect_b32 s5, -1, 0
	s_cmp_eq_u32 s14, 0
	s_wait_alu 0xfffe
	s_cselect_b32 s5, s5, -1
	s_wait_alu 0xfffe
	s_cmp_lg_u32 s5, 0
	s_cselect_b32 s5, s4, s13
	s_cselect_b32 s4, s2, s12
	s_mov_b32 s2, ttmp9
	s_wait_alu 0xfffe
	s_add_nc_u64 s[4:5], s[4:5], 1
	s_wait_alu 0xfffe
	v_cmp_lt_u64_e64 s12, s[2:3], s[4:5]
	s_delay_alu instid0(VALU_DEP_1)
	s_and_b32 vcc_lo, exec_lo, s12
	s_cbranch_vccnz .LBB0_2
; %bb.1:
	v_cvt_f32_u32_e32 v1, s4
	s_sub_co_i32 s13, 0, s4
	s_mov_b32 s17, s3
	s_delay_alu instid0(VALU_DEP_1) | instskip(NEXT) | instid1(TRANS32_DEP_1)
	v_rcp_iflag_f32_e32 v1, v1
	v_mul_f32_e32 v1, 0x4f7ffffe, v1
	s_delay_alu instid0(VALU_DEP_1) | instskip(NEXT) | instid1(VALU_DEP_1)
	v_cvt_u32_f32_e32 v1, v1
	v_readfirstlane_b32 s12, v1
	s_delay_alu instid0(VALU_DEP_1) | instskip(NEXT) | instid1(SALU_CYCLE_1)
	s_mul_i32 s13, s13, s12
	s_mul_hi_u32 s13, s12, s13
	s_delay_alu instid0(SALU_CYCLE_1) | instskip(NEXT) | instid1(SALU_CYCLE_1)
	s_add_co_i32 s12, s12, s13
	s_mul_hi_u32 s12, s2, s12
	s_delay_alu instid0(SALU_CYCLE_1) | instskip(SKIP_2) | instid1(SALU_CYCLE_1)
	s_mul_i32 s13, s12, s4
	s_add_co_i32 s14, s12, 1
	s_sub_co_i32 s13, s2, s13
	s_sub_co_i32 s15, s13, s4
	s_cmp_ge_u32 s13, s4
	s_cselect_b32 s12, s14, s12
	s_cselect_b32 s13, s15, s13
	s_add_co_i32 s14, s12, 1
	s_cmp_ge_u32 s13, s4
	s_cselect_b32 s16, s14, s12
.LBB0_2:
	v_mul_u32_u24_e32 v1, 0x71d, v0
	s_mul_u64 s[12:13], s[16:17], s[4:5]
	s_load_b128 s[4:7], s[6:7], 0x8
	s_sub_nc_u64 s[2:3], s[2:3], s[12:13]
	s_clause 0x1
	s_load_b64 s[14:15], s[0:1], 0x0
	s_load_b64 s[12:13], s[0:1], 0x50
	v_lshrrev_b32_e32 v72, 16, v1
	s_mul_u64 s[20:21], s[2:3], 36
	s_delay_alu instid0(SALU_CYCLE_1) | instskip(NEXT) | instid1(SALU_CYCLE_1)
	s_add_nc_u64 s[22:23], s[20:21], 36
	v_cmp_gt_u64_e64 s2, s[22:23], s[10:11]
	s_delay_alu instid0(VALU_DEP_2)
	v_mul_lo_u16 v1, v72, 36
	v_cmp_le_u64_e64 s3, s[22:23], s[10:11]
	v_add_nc_u32_e32 v29, 14, v72
	v_add_nc_u32_e32 v30, 28, v72
	;; [unrolled: 1-line block ×3, first 2 shown]
	v_sub_nc_u16 v1, v0, v1
	s_and_b32 vcc_lo, exec_lo, s2
	v_add_nc_u32_e32 v32, 21, v72
	v_add_nc_u32_e32 v33, 35, v72
	s_delay_alu instid0(VALU_DEP_3)
	v_and_b32_e32 v73, 0xffff, v1
	s_wait_kmcnt 0x0
	s_mul_u64 s[22:23], s[20:21], s[4:5]
	s_mul_u64 s[6:7], s[6:7], s[16:17]
	s_wait_alu 0xfffe
	s_add_nc_u64 s[6:7], s[6:7], s[22:23]
	v_add_co_u32 v24, s2, s20, v73
	s_wait_alu 0xf1ff
	v_add_co_ci_u32_e64 v25, null, s21, 0, s2
	s_cbranch_vccnz .LBB0_4
; %bb.3:
	v_mad_co_u64_u32 v[1:2], null, s4, v73, 0
	v_mad_co_u64_u32 v[3:4], null, s8, v72, 0
	s_lshl_b64 s[16:17], s[6:7], 3
	v_add_nc_u32_e32 v35, 35, v72
	s_add_nc_u64 s[16:17], s[12:13], s[16:17]
	v_add_nc_u32_e32 v74, 7, v72
	v_add_nc_u32_e32 v18, 0x46, v72
	s_delay_alu instid0(VALU_DEP_4) | instskip(SKIP_1) | instid1(VALU_DEP_4)
	v_mad_co_u64_u32 v[5:6], null, s5, v73, v[2:3]
	v_add_nc_u32_e32 v23, 14, v72
	v_mad_co_u64_u32 v[16:17], null, s8, v74, 0
	v_add_nc_u32_e32 v34, 21, v72
	v_add_nc_u32_e32 v22, 49, v72
	;; [unrolled: 1-line block ×3, first 2 shown]
	v_mov_b32_e32 v2, v5
	v_mad_co_u64_u32 v[6:7], null, s8, v23, 0
	v_add_nc_u32_e32 v28, 28, v72
	v_mad_co_u64_u32 v[10:11], null, s9, v72, v[4:5]
	v_add_nc_u32_e32 v15, 42, v72
	v_lshlrev_b64_e32 v[1:2], 3, v[1:2]
	v_mad_co_u64_u32 v[36:37], null, s8, v44, 0
	v_mov_b32_e32 v5, v7
	v_mad_co_u64_u32 v[8:9], null, s8, v28, 0
	v_mov_b32_e32 v4, v10
	v_mad_co_u64_u32 v[11:12], null, s8, v15, 0
	v_add_co_u32 v42, vcc_lo, s16, v1
	s_delay_alu instid0(VALU_DEP_3) | instskip(SKIP_3) | instid1(VALU_DEP_3)
	v_lshlrev_b64_e32 v[3:4], 3, v[3:4]
	v_mov_b32_e32 v7, v9
	v_mad_co_u64_u32 v[9:10], null, s9, v23, v[5:6]
	v_add_co_ci_u32_e32 v43, vcc_lo, s17, v2, vcc_lo
	v_mad_co_u64_u32 v[13:14], null, s9, v28, v[7:8]
	v_add_co_u32 v1, vcc_lo, v42, v3
	s_delay_alu instid0(VALU_DEP_4)
	v_mov_b32_e32 v7, v9
	s_wait_alu 0xfffd
	v_add_co_ci_u32_e32 v2, vcc_lo, v43, v4, vcc_lo
	v_mov_b32_e32 v3, v12
	v_mov_b32_e32 v9, v13
	v_lshlrev_b64_e32 v[4:5], 3, v[6:7]
	v_or_b32_e32 v14, 56, v72
	s_delay_alu instid0(VALU_DEP_2) | instskip(NEXT) | instid1(VALU_DEP_4)
	v_mad_co_u64_u32 v[6:7], null, s9, v15, v[3:4]
	v_lshlrev_b64_e32 v[7:8], 3, v[8:9]
	s_delay_alu instid0(VALU_DEP_3)
	v_mad_co_u64_u32 v[9:10], null, s8, v14, 0
	v_add_co_u32 v3, vcc_lo, v42, v4
	s_wait_alu 0xfffd
	v_add_co_ci_u32_e32 v4, vcc_lo, v43, v5, vcc_lo
	v_mov_b32_e32 v12, v6
	v_add_co_u32 v5, vcc_lo, v42, v7
	v_mov_b32_e32 v7, v10
	s_wait_alu 0xfffd
	v_add_co_ci_u32_e32 v6, vcc_lo, v43, v8, vcc_lo
	v_lshlrev_b64_e32 v[10:11], 3, v[11:12]
	v_mad_co_u64_u32 v[12:13], null, s8, v18, 0
	v_mad_co_u64_u32 v[7:8], null, s9, v14, v[7:8]
	s_delay_alu instid0(VALU_DEP_3) | instskip(SKIP_1) | instid1(VALU_DEP_4)
	v_add_co_u32 v14, vcc_lo, v42, v10
	s_wait_alu 0xfffd
	v_add_co_ci_u32_e32 v15, vcc_lo, v43, v11, vcc_lo
	s_delay_alu instid0(VALU_DEP_4) | instskip(NEXT) | instid1(VALU_DEP_4)
	v_mov_b32_e32 v8, v13
	v_dual_mov_b32 v10, v7 :: v_dual_mov_b32 v11, v17
	s_delay_alu instid0(VALU_DEP_2)
	v_mad_co_u64_u32 v[18:19], null, s9, v18, v[8:9]
	s_clause 0x3
	global_load_b64 v[1:2], v[1:2], off
	global_load_b64 v[3:4], v[3:4], off
	global_load_b64 v[7:8], v[5:6], off
	global_load_b64 v[5:6], v[14:15], off
	v_mad_co_u64_u32 v[14:15], null, s9, v74, v[11:12]
	v_lshlrev_b64_e32 v[9:10], 3, v[9:10]
	v_mov_b32_e32 v13, v18
	v_mad_co_u64_u32 v[18:19], null, s8, v34, 0
	s_delay_alu instid0(VALU_DEP_4) | instskip(SKIP_1) | instid1(VALU_DEP_4)
	v_mov_b32_e32 v17, v14
	v_mad_co_u64_u32 v[14:15], null, s8, v35, 0
	v_lshlrev_b64_e32 v[11:12], 3, v[12:13]
	v_add_co_u32 v9, vcc_lo, v42, v9
	v_mov_b32_e32 v13, v19
	s_wait_alu 0xfffd
	v_add_co_ci_u32_e32 v10, vcc_lo, v43, v10, vcc_lo
	s_delay_alu instid0(VALU_DEP_4) | instskip(NEXT) | instid1(VALU_DEP_3)
	v_add_co_u32 v11, vcc_lo, v42, v11
	v_mad_co_u64_u32 v[19:20], null, s9, v34, v[13:14]
	v_mad_co_u64_u32 v[20:21], null, s8, v22, 0
	v_mov_b32_e32 v13, v15
	v_lshlrev_b64_e32 v[15:16], 3, v[16:17]
	s_wait_alu 0xfffd
	v_add_co_ci_u32_e32 v12, vcc_lo, v43, v12, vcc_lo
	s_delay_alu instid0(VALU_DEP_3)
	v_mad_co_u64_u32 v[26:27], null, s9, v35, v[13:14]
	v_add_nc_u32_e32 v27, 0x4d, v72
	v_mov_b32_e32 v13, v21
	v_add_co_u32 v40, vcc_lo, v42, v15
	s_wait_alu 0xfffd
	v_add_co_ci_u32_e32 v41, vcc_lo, v43, v16, vcc_lo
	v_mad_co_u64_u32 v[38:39], null, s8, v27, 0
	v_mad_co_u64_u32 v[21:22], null, s9, v22, v[13:14]
	v_mov_b32_e32 v13, v37
	v_mov_b32_e32 v15, v26
	v_lshlrev_b64_e32 v[16:17], 3, v[18:19]
	s_delay_alu instid0(VALU_DEP_3) | instskip(NEXT) | instid1(VALU_DEP_3)
	v_mad_co_u64_u32 v[18:19], null, s9, v44, v[13:14]
	v_lshlrev_b64_e32 v[14:15], 3, v[14:15]
	v_mov_b32_e32 v13, v39
	s_delay_alu instid0(VALU_DEP_4)
	v_add_co_u32 v16, vcc_lo, v42, v16
	v_lshlrev_b64_e32 v[19:20], 3, v[20:21]
	s_wait_alu 0xfffd
	v_add_co_ci_u32_e32 v17, vcc_lo, v43, v17, vcc_lo
	v_mad_co_u64_u32 v[26:27], null, s9, v27, v[13:14]
	v_mov_b32_e32 v37, v18
	v_add_co_u32 v13, vcc_lo, v42, v14
	s_wait_alu 0xfffd
	v_add_co_ci_u32_e32 v14, vcc_lo, v43, v15, vcc_lo
	s_delay_alu instid0(VALU_DEP_3) | instskip(SKIP_4) | instid1(VALU_DEP_3)
	v_lshlrev_b64_e32 v[21:22], 3, v[36:37]
	v_mov_b32_e32 v39, v26
	v_add_co_u32 v36, vcc_lo, v42, v19
	s_wait_alu 0xfffd
	v_add_co_ci_u32_e32 v37, vcc_lo, v43, v20, vcc_lo
	v_lshlrev_b64_e32 v[18:19], 3, v[38:39]
	v_add_co_u32 v38, vcc_lo, v42, v21
	s_wait_alu 0xfffd
	v_add_co_ci_u32_e32 v39, vcc_lo, v43, v22, vcc_lo
	s_delay_alu instid0(VALU_DEP_3)
	v_add_co_u32 v42, vcc_lo, v42, v18
	s_wait_alu 0xfffd
	v_add_co_ci_u32_e32 v43, vcc_lo, v43, v19, vcc_lo
	s_clause 0x7
	global_load_b64 v[26:27], v[9:10], off
	global_load_b64 v[21:22], v[11:12], off
	global_load_b64 v[9:10], v[40:41], off
	global_load_b64 v[11:12], v[16:17], off
	global_load_b64 v[19:20], v[13:14], off
	global_load_b64 v[15:16], v[36:37], off
	global_load_b64 v[17:18], v[38:39], off
	global_load_b64 v[13:14], v[42:43], off
	s_cbranch_execz .LBB0_5
	s_branch .LBB0_10
.LBB0_4:
                                        ; implicit-def: $vgpr5
                                        ; implicit-def: $vgpr21
                                        ; implicit-def: $vgpr13
                                        ; implicit-def: $vgpr17
                                        ; implicit-def: $vgpr15
                                        ; implicit-def: $vgpr19
                                        ; implicit-def: $vgpr11
                                        ; implicit-def: $vgpr9
                                        ; implicit-def: $vgpr26
                                        ; implicit-def: $vgpr7
                                        ; implicit-def: $vgpr3
                                        ; implicit-def: $vgpr1
                                        ; implicit-def: $vgpr74
                                        ; implicit-def: $vgpr23
                                        ; implicit-def: $vgpr34
                                        ; implicit-def: $vgpr28
                                        ; implicit-def: $vgpr35
	s_and_not1_b32 vcc_lo, exec_lo, s18
	s_cbranch_vccnz .LBB0_10
.LBB0_5:
	s_mov_b32 s2, exec_lo
                                        ; implicit-def: $vgpr74
                                        ; implicit-def: $vgpr23
                                        ; implicit-def: $vgpr34
                                        ; implicit-def: $vgpr28
                                        ; implicit-def: $vgpr35
	v_cmpx_le_u64_e64 s[10:11], v[24:25]
	s_wait_alu 0xfffe
	s_xor_b32 s2, exec_lo, s2
; %bb.6:
	v_add_nc_u32_e32 v74, 7, v72
	v_add_nc_u32_e32 v23, 14, v72
	;; [unrolled: 1-line block ×5, first 2 shown]
                                        ; implicit-def: $vgpr29
                                        ; implicit-def: $vgpr30
                                        ; implicit-def: $vgpr31
                                        ; implicit-def: $vgpr32
                                        ; implicit-def: $vgpr33
; %bb.7:
	s_wait_alu 0xfffe
	s_or_saveexec_b32 s2, s2
                                        ; implicit-def: $vgpr5
                                        ; implicit-def: $vgpr21
                                        ; implicit-def: $vgpr13
                                        ; implicit-def: $vgpr17
                                        ; implicit-def: $vgpr15
                                        ; implicit-def: $vgpr19
                                        ; implicit-def: $vgpr11
                                        ; implicit-def: $vgpr9
                                        ; implicit-def: $vgpr26
                                        ; implicit-def: $vgpr7
                                        ; implicit-def: $vgpr3
                                        ; implicit-def: $vgpr1
	s_wait_alu 0xfffe
	s_xor_b32 exec_lo, exec_lo, s2
	s_cbranch_execz .LBB0_9
; %bb.8:
	s_wait_loadcnt 0xb
	v_mad_co_u64_u32 v[1:2], null, s4, v73, 0
	s_wait_loadcnt 0xa
	v_mad_co_u64_u32 v[3:4], null, s8, v72, 0
	;; [unrolled: 2-line block ×3, first 2 shown]
	s_lshl_b64 s[16:17], s[6:7], 3
	s_wait_loadcnt 0x2
	v_or_b32_e32 v16, 56, v72
	s_wait_alu 0xfffe
	s_add_nc_u64 s[16:17], s[12:13], s[16:17]
	v_mad_co_u64_u32 v[20:21], null, s8, v33, 0
	v_mad_co_u64_u32 v[7:8], null, s5, v73, v[2:3]
	;; [unrolled: 1-line block ×4, first 2 shown]
	v_add_nc_u32_e32 v15, 42, v72
	v_add_nc_u32_e32 v28, 49, v72
	v_mov_b32_e32 v2, v7
	v_dual_mov_b32 v7, v9 :: v_dual_add_nc_u32 v36, 63, v72
	s_delay_alu instid0(VALU_DEP_4) | instskip(SKIP_1) | instid1(VALU_DEP_4)
	v_mad_co_u64_u32 v[11:12], null, s8, v15, 0
	v_mov_b32_e32 v4, v10
	v_lshlrev_b64_e32 v[1:2], 3, v[1:2]
	s_delay_alu instid0(VALU_DEP_4)
	v_mad_co_u64_u32 v[9:10], null, s9, v29, v[6:7]
	s_wait_loadcnt 0x0
	v_mad_co_u64_u32 v[13:14], null, s9, v30, v[7:8]
	v_lshlrev_b64_e32 v[3:4], 3, v[3:4]
	s_wait_alu 0xfffe
	v_add_co_u32 v38, vcc_lo, s16, v1
	s_wait_alu 0xfffd
	v_add_co_ci_u32_e32 v39, vcc_lo, s17, v2, vcc_lo
	v_mov_b32_e32 v6, v9
	s_delay_alu instid0(VALU_DEP_3)
	v_add_co_u32 v1, vcc_lo, v38, v3
	v_mov_b32_e32 v3, v12
	s_wait_alu 0xfffd
	v_add_co_ci_u32_e32 v2, vcc_lo, v39, v4, vcc_lo
	v_lshlrev_b64_e32 v[4:5], 3, v[5:6]
	v_mad_co_u64_u32 v[26:27], null, s8, v28, 0
	v_add_nc_u32_e32 v40, 0x4d, v72
	v_mov_b32_e32 v74, v31
	s_delay_alu instid0(VALU_DEP_4)
	v_mad_co_u64_u32 v[6:7], null, s9, v15, v[3:4]
	v_mov_b32_e32 v9, v13
	v_mad_co_u64_u32 v[13:14], null, s8, v16, 0
	v_add_co_u32 v3, vcc_lo, v38, v4
	s_wait_alu 0xfffd
	v_add_co_ci_u32_e32 v4, vcc_lo, v39, v5, vcc_lo
	v_mov_b32_e32 v12, v6
	v_lshlrev_b64_e32 v[7:8], 3, v[8:9]
	v_mov_b32_e32 v5, v14
	v_mad_co_u64_u32 v[34:35], null, s8, v40, 0
	s_delay_alu instid0(VALU_DEP_4) | instskip(NEXT) | instid1(VALU_DEP_4)
	v_lshlrev_b64_e32 v[11:12], 3, v[11:12]
	v_add_co_u32 v6, vcc_lo, v38, v7
	s_wait_alu 0xfffd
	v_add_co_ci_u32_e32 v7, vcc_lo, v39, v8, vcc_lo
	s_delay_alu instid0(VALU_DEP_2) | instskip(SKIP_2) | instid1(VALU_DEP_3)
	v_mad_co_u64_u32 v[14:15], null, s9, v16, v[5:6]
	v_mad_co_u64_u32 v[15:16], null, s8, v31, 0
	v_add_nc_u32_e32 v17, 0x46, v72
	v_lshlrev_b64_e32 v[13:14], 3, v[13:14]
	s_delay_alu instid0(VALU_DEP_2) | instskip(NEXT) | instid1(VALU_DEP_1)
	v_mad_co_u64_u32 v[9:10], null, s8, v17, 0
	v_mov_b32_e32 v5, v10
	v_add_co_u32 v10, vcc_lo, v38, v11
	s_wait_alu 0xfffd
	v_add_co_ci_u32_e32 v11, vcc_lo, v39, v12, vcc_lo
	v_mov_b32_e32 v12, v16
	v_mad_co_u64_u32 v[17:18], null, s9, v17, v[5:6]
	s_clause 0x3
	global_load_b64 v[1:2], v[1:2], off
	global_load_b64 v[3:4], v[3:4], off
	;; [unrolled: 1-line block ×4, first 2 shown]
	v_mad_co_u64_u32 v[18:19], null, s8, v32, 0
	v_mad_co_u64_u32 v[11:12], null, s9, v31, v[12:13]
	v_add_co_u32 v12, vcc_lo, v38, v13
	v_mov_b32_e32 v10, v17
	s_wait_alu 0xfffd
	v_add_co_ci_u32_e32 v13, vcc_lo, v39, v14, vcc_lo
	s_delay_alu instid0(VALU_DEP_4) | instskip(NEXT) | instid1(VALU_DEP_3)
	v_dual_mov_b32 v16, v11 :: v_dual_mov_b32 v11, v19
	v_lshlrev_b64_e32 v[9:10], 3, v[9:10]
	s_delay_alu instid0(VALU_DEP_2) | instskip(NEXT) | instid1(VALU_DEP_3)
	v_lshlrev_b64_e32 v[14:15], 3, v[15:16]
	v_mad_co_u64_u32 v[22:23], null, s9, v32, v[11:12]
	v_mov_b32_e32 v11, v21
	s_delay_alu instid0(VALU_DEP_4) | instskip(SKIP_2) | instid1(VALU_DEP_3)
	v_add_co_u32 v9, vcc_lo, v38, v9
	s_wait_alu 0xfffd
	v_add_co_ci_u32_e32 v10, vcc_lo, v39, v10, vcc_lo
	v_mad_co_u64_u32 v[16:17], null, s9, v33, v[11:12]
	v_mov_b32_e32 v19, v22
	v_mad_co_u64_u32 v[22:23], null, s8, v36, 0
	v_mov_b32_e32 v11, v27
	v_add_co_u32 v14, vcc_lo, v38, v14
	s_delay_alu instid0(VALU_DEP_4) | instskip(SKIP_1) | instid1(VALU_DEP_4)
	v_lshlrev_b64_e32 v[17:18], 3, v[18:19]
	v_mov_b32_e32 v21, v16
	v_mad_co_u64_u32 v[27:28], null, s9, v28, v[11:12]
	v_dual_mov_b32 v28, v30 :: v_dual_mov_b32 v11, v23
	s_wait_alu 0xfffd
	v_add_co_ci_u32_e32 v15, vcc_lo, v39, v15, vcc_lo
	v_add_co_u32 v16, vcc_lo, v38, v17
	s_delay_alu instid0(VALU_DEP_3)
	v_mad_co_u64_u32 v[36:37], null, s9, v36, v[11:12]
	v_mov_b32_e32 v11, v35
	s_wait_alu 0xfffd
	v_add_co_ci_u32_e32 v17, vcc_lo, v39, v18, vcc_lo
	v_lshlrev_b64_e32 v[18:19], 3, v[20:21]
	v_lshlrev_b64_e32 v[26:27], 3, v[26:27]
	v_mad_co_u64_u32 v[20:21], null, s9, v40, v[11:12]
	v_mov_b32_e32 v23, v36
	s_delay_alu instid0(VALU_DEP_4) | instskip(SKIP_2) | instid1(VALU_DEP_4)
	v_add_co_u32 v18, vcc_lo, v38, v18
	s_wait_alu 0xfffd
	v_add_co_ci_u32_e32 v19, vcc_lo, v39, v19, vcc_lo
	v_mov_b32_e32 v35, v20
	v_lshlrev_b64_e32 v[21:22], 3, v[22:23]
	v_add_co_u32 v36, vcc_lo, v38, v26
	s_wait_alu 0xfffd
	v_add_co_ci_u32_e32 v37, vcc_lo, v39, v27, vcc_lo
	v_lshlrev_b64_e32 v[26:27], 3, v[34:35]
	s_delay_alu instid0(VALU_DEP_4) | instskip(SKIP_3) | instid1(VALU_DEP_4)
	v_add_co_u32 v34, vcc_lo, v38, v21
	s_wait_alu 0xfffd
	v_add_co_ci_u32_e32 v35, vcc_lo, v39, v22, vcc_lo
	v_mov_b32_e32 v23, v29
	v_add_co_u32 v38, vcc_lo, v38, v26
	s_wait_alu 0xfffd
	v_add_co_ci_u32_e32 v39, vcc_lo, v39, v27, vcc_lo
	s_clause 0x7
	global_load_b64 v[26:27], v[12:13], off
	global_load_b64 v[21:22], v[9:10], off
	;; [unrolled: 1-line block ×8, first 2 shown]
	v_dual_mov_b32 v34, v32 :: v_dual_mov_b32 v35, v33
.LBB0_9:
	s_or_b32 exec_lo, exec_lo, s2
.LBB0_10:
	s_wait_loadcnt 0x7
	v_dual_add_f32 v29, v7, v26 :: v_dual_add_f32 v30, v1, v7
	v_sub_f32_e32 v31, v8, v27
	v_add_f32_e32 v32, v8, v27
	s_delay_alu instid0(VALU_DEP_3) | instskip(SKIP_2) | instid1(VALU_DEP_4)
	v_dual_add_f32 v8, v2, v8 :: v_dual_fmac_f32 v1, -0.5, v29
	v_sub_f32_e32 v7, v7, v26
	v_add_f32_e32 v26, v30, v26
	v_fmac_f32_e32 v2, -0.5, v32
	s_delay_alu instid0(VALU_DEP_4)
	v_dual_add_f32 v8, v8, v27 :: v_dual_fmamk_f32 v29, v31, 0x3f5db3d7, v1
	s_wait_loadcnt 0x6
	v_dual_fmac_f32 v1, 0xbf5db3d7, v31 :: v_dual_add_f32 v30, v21, v5
	v_dual_add_f32 v31, v22, v6 :: v_dual_add_f32 v32, v3, v5
	v_sub_f32_e32 v5, v5, v21
	v_fmamk_f32 v27, v7, 0xbf5db3d7, v2
	s_delay_alu instid0(VALU_DEP_4) | instskip(SKIP_4) | instid1(VALU_DEP_4)
	v_fmac_f32_e32 v3, -0.5, v30
	v_sub_f32_e32 v30, v6, v22
	v_add_f32_e32 v6, v4, v6
	v_fmac_f32_e32 v4, -0.5, v31
	v_dual_fmac_f32 v2, 0x3f5db3d7, v7 :: v_dual_add_f32 v21, v21, v32
	v_fmamk_f32 v7, v30, 0x3f5db3d7, v3
	s_delay_alu instid0(VALU_DEP_3) | instskip(SKIP_1) | instid1(VALU_DEP_3)
	v_dual_fmac_f32 v3, 0xbf5db3d7, v30 :: v_dual_fmamk_f32 v30, v5, 0xbf5db3d7, v4
	v_fmac_f32_e32 v4, 0x3f5db3d7, v5
	v_dual_add_f32 v6, v22, v6 :: v_dual_mul_f32 v5, 0.5, v7
	s_delay_alu instid0(VALU_DEP_3) | instskip(NEXT) | instid1(VALU_DEP_3)
	v_mul_f32_e32 v31, -0.5, v3
	v_dual_mul_f32 v7, 0xbf5db3d7, v7 :: v_dual_mul_f32 v22, -0.5, v4
	s_delay_alu instid0(VALU_DEP_3) | instskip(NEXT) | instid1(VALU_DEP_4)
	v_add_f32_e32 v32, v8, v6
	v_fmac_f32_e32 v5, 0x3f5db3d7, v30
	s_delay_alu instid0(VALU_DEP_4) | instskip(NEXT) | instid1(VALU_DEP_4)
	v_fmac_f32_e32 v31, 0x3f5db3d7, v4
	v_dual_fmac_f32 v7, 0.5, v30 :: v_dual_fmac_f32 v22, 0xbf5db3d7, v3
	v_add_f32_e32 v4, v26, v21
	s_delay_alu instid0(VALU_DEP_4) | instskip(NEXT) | instid1(VALU_DEP_4)
	v_add_f32_e32 v3, v29, v5
	v_dual_add_f32 v30, v1, v31 :: v_dual_sub_f32 v21, v26, v21
	s_delay_alu instid0(VALU_DEP_4)
	v_dual_add_f32 v33, v27, v7 :: v_dual_sub_f32 v8, v8, v6
	v_dual_add_f32 v36, v2, v22 :: v_dual_sub_f32 v5, v29, v5
	v_dual_sub_f32 v22, v2, v22 :: v_dual_sub_f32 v1, v1, v31
	s_wait_loadcnt 0x1
	v_add_f32_e32 v6, v19, v17
	v_dual_sub_f32 v7, v27, v7 :: v_dual_add_f32 v2, v20, v18
	v_add_f32_e32 v26, v9, v19
	v_add_f32_e32 v27, v11, v15
	s_delay_alu instid0(VALU_DEP_4)
	v_fmac_f32_e32 v9, -0.5, v6
	v_sub_f32_e32 v6, v20, v18
	v_add_f32_e32 v20, v10, v20
	v_fmac_f32_e32 v10, -0.5, v2
	v_sub_f32_e32 v2, v19, v17
	v_mul_u32_u24_e32 v31, 0x360, v72
	v_lshlrev_b32_e32 v38, 2, v73
	v_add_f32_e32 v18, v20, v18
	v_cmp_gt_u32_e64 s2, 0xb4, v0
	v_fmamk_f32 v19, v2, 0xbf5db3d7, v10
	v_add_f32_e32 v26, v26, v17
	v_fmamk_f32 v17, v6, 0x3f5db3d7, v9
	s_wait_loadcnt 0x0
	v_dual_fmac_f32 v9, 0xbf5db3d7, v6 :: v_dual_add_f32 v6, v15, v13
	v_dual_sub_f32 v15, v15, v13 :: v_dual_add_f32 v20, v16, v14
                                        ; implicit-def: $vgpr81
                                        ; implicit-def: $vgpr79
	s_delay_alu instid0(VALU_DEP_2) | instskip(SKIP_2) | instid1(VALU_DEP_4)
	v_fmac_f32_e32 v11, -0.5, v6
	v_sub_f32_e32 v6, v16, v14
	v_add_f32_e32 v16, v12, v16
	v_fmac_f32_e32 v12, -0.5, v20
	v_fmac_f32_e32 v10, 0x3f5db3d7, v2
	s_delay_alu instid0(VALU_DEP_4)
	v_fmamk_f32 v2, v6, 0x3f5db3d7, v11
	v_fmac_f32_e32 v11, 0xbf5db3d7, v6
	v_add_f32_e32 v14, v16, v14
	v_add_f32_e32 v6, v27, v13
	v_fmamk_f32 v13, v15, 0xbf5db3d7, v12
	v_dual_fmac_f32 v12, 0x3f5db3d7, v15 :: v_dual_mul_f32 v15, 0.5, v2
	s_delay_alu instid0(VALU_DEP_1) | instskip(NEXT) | instid1(VALU_DEP_1)
	v_dual_mul_f32 v16, -0.5, v12 :: v_dual_fmac_f32 v15, 0x3f5db3d7, v13
	v_fmac_f32_e32 v16, 0xbf5db3d7, v11
	v_mul_f32_e32 v20, -0.5, v11
	s_delay_alu instid0(VALU_DEP_3) | instskip(SKIP_2) | instid1(VALU_DEP_2)
	v_add_f32_e32 v11, v17, v15
	v_dual_sub_f32 v15, v17, v15 :: v_dual_mul_f32 v2, 0xbf5db3d7, v2
	v_mul_i32_i24_e32 v17, 0x360, v74
	v_fmac_f32_e32 v2, 0.5, v13
	s_delay_alu instid0(VALU_DEP_2) | instskip(NEXT) | instid1(VALU_DEP_2)
	v_add3_u32 v17, 0, v17, v38
	v_dual_add_f32 v29, v19, v2 :: v_dual_fmac_f32 v20, 0x3f5db3d7, v12
	s_delay_alu instid0(VALU_DEP_1)
	v_add_f32_e32 v13, v9, v20
	v_sub_f32_e32 v9, v9, v20
	v_add3_u32 v20, 0, v31, v38
	v_add_f32_e32 v27, v18, v14
	v_add_f32_e32 v12, v26, v6
	v_sub_f32_e32 v6, v26, v6
	ds_store_2addr_b32 v20, v4, v3 offset1:36
	ds_store_2addr_b32 v20, v30, v21 offset0:72 offset1:108
	ds_store_2addr_b32 v20, v5, v1 offset0:144 offset1:180
	ds_store_2addr_b32 v17, v12, v11 offset1:36
	v_mul_lo_u16 v11, v72, 43
	v_mad_i32_i24 v30, 0xfffffd30, v72, v20
	ds_store_2addr_b32 v17, v13, v6 offset0:72 offset1:108
	ds_store_2addr_b32 v17, v15, v9 offset0:144 offset1:180
	v_mul_i32_i24_e32 v9, 0x90, v35
	v_mul_i32_i24_e32 v1, 0x90, v23
	v_lshrrev_b16 v26, 8, v11
	v_mul_i32_i24_e32 v5, 0x90, v34
	v_mul_i32_i24_e32 v6, 0x90, v28
	v_dual_sub_f32 v14, v18, v14 :: v_dual_and_b32 v11, 0xff, v28
	v_add_nc_u32_e32 v21, 0x1f80, v30
	v_sub_f32_e32 v18, v19, v2
	v_add_nc_u32_e32 v19, 0x17a0, v30
	v_add_nc_u32_e32 v40, 0x2760, v30
	v_mad_i32_i24 v31, 0xfffffd30, v74, v17
	v_add3_u32 v43, 0, v9, v38
	v_mul_lo_u16 v9, v26, 6
	v_add3_u32 v39, 0, v1, v38
	v_add3_u32 v41, 0, v5, v38
	v_add_f32_e32 v37, v10, v16
	v_add3_u32 v42, 0, v6, v38
	v_sub_f32_e32 v10, v10, v16
	global_wb scope:SCOPE_SE
	s_wait_dscnt 0x0
	s_barrier_signal -1
	s_barrier_wait -1
	global_inv scope:SCOPE_SE
	ds_load_2addr_b32 v[3:4], v19 offset1:252
	ds_load_2addr_b32 v[1:2], v21 offset1:252
	;; [unrolled: 1-line block ×3, first 2 shown]
	ds_load_b32 v46, v30
	ds_load_b32 v47, v31
	ds_load_b32 v48, v39
	ds_load_b32 v49, v41
	ds_load_b32 v50, v42
	ds_load_b32 v51, v43
	global_wb scope:SCOPE_SE
	s_wait_dscnt 0x0
	s_barrier_signal -1
	s_barrier_wait -1
	global_inv scope:SCOPE_SE
	ds_store_2addr_b32 v20, v32, v33 offset1:36
	ds_store_2addr_b32 v20, v36, v8 offset0:72 offset1:108
	v_and_b32_e32 v8, 0xff, v74
	v_sub_nc_u16 v32, v72, v9
	v_and_b32_e32 v9, 0xff, v23
	ds_store_2addr_b32 v20, v7, v22 offset0:144 offset1:180
	ds_store_2addr_b32 v17, v27, v29 offset1:36
	ds_store_2addr_b32 v17, v37, v14 offset0:72 offset1:108
	ds_store_2addr_b32 v17, v18, v10 offset0:144 offset1:180
	v_and_b32_e32 v10, 0xff, v34
	v_and_b32_e32 v12, 0xff, v35
	v_mul_lo_u16 v29, 0xab, v8
	v_mul_lo_u16 v8, 0xab, v9
	v_and_b32_e32 v7, 0xff, v32
	v_mul_lo_u16 v9, 0xab, v10
	v_mul_lo_u16 v10, 0xab, v11
	;; [unrolled: 1-line block ×3, first 2 shown]
	v_lshrrev_b16 v20, 10, v29
	v_lshrrev_b16 v22, 10, v8
	;; [unrolled: 1-line block ×5, first 2 shown]
	v_mul_lo_u16 v8, v20, 6
	v_mul_lo_u16 v9, v22, 6
	;; [unrolled: 1-line block ×5, first 2 shown]
	v_sub_nc_u16 v8, v74, v8
	v_sub_nc_u16 v9, v23, v9
	;; [unrolled: 1-line block ×5, first 2 shown]
	v_lshlrev_b32_e32 v7, 3, v7
	v_and_b32_e32 v37, 0xff, v8
	v_and_b32_e32 v44, 0xff, v9
	;; [unrolled: 1-line block ×5, first 2 shown]
	global_wb scope:SCOPE_SE
	s_wait_dscnt 0x0
	s_barrier_signal -1
	s_barrier_wait -1
	global_inv scope:SCOPE_SE
	global_load_b64 v[11:12], v7, s[14:15]
	v_lshlrev_b32_e32 v7, 3, v37
	v_lshlrev_b32_e32 v8, 3, v44
	v_lshlrev_b32_e32 v9, 3, v45
	v_lshlrev_b32_e32 v10, 3, v52
	v_lshlrev_b32_e32 v23, 3, v53
	s_clause 0x4
	global_load_b64 v[13:14], v7, s[14:15]
	global_load_b64 v[15:16], v8, s[14:15]
	;; [unrolled: 1-line block ×5, first 2 shown]
	v_and_b32_e32 v54, 0xffff, v20
	v_mad_u16 v20, v26, 12, v32
	v_and_b32_e32 v55, 0xffff, v22
	v_and_b32_e32 v56, 0xffff, v27
	;; [unrolled: 1-line block ×5, first 2 shown]
	ds_load_2addr_b32 v[26:27], v19 offset1:252
	ds_load_2addr_b32 v[21:22], v21 offset1:252
	;; [unrolled: 1-line block ×3, first 2 shown]
	ds_load_b32 v35, v30
	ds_load_b32 v23, v31
	;; [unrolled: 1-line block ×6, first 2 shown]
	v_mad_u32_u24 v37, v54, 12, v37
	v_mad_u32_u24 v42, v56, 12, v45
	;; [unrolled: 1-line block ×3, first 2 shown]
	v_mul_u32_u24_e32 v39, 0x90, v58
	global_wb scope:SCOPE_SE
	s_wait_loadcnt_dscnt 0x0
	v_mul_u32_u24_e32 v37, 0x90, v37
	s_barrier_signal -1
	v_mul_u32_u24_e32 v36, 0x90, v36
	v_add3_u32 v40, 0, v39, v38
	s_barrier_wait -1
	global_inv scope:SCOPE_SE
	v_mul_f32_e32 v53, v20, v10
	v_mad_u32_u24 v43, v57, 12, v52
	v_mul_f32_e32 v52, v19, v8
	v_mad_u32_u24 v41, v55, 12, v44
	v_mul_u32_u24_e32 v44, 0x90, v42
	v_fma_f32 v53, v6, v9, -v53
	v_mul_u32_u24_e32 v45, 0x90, v43
	v_fma_f32 v52, v5, v7, -v52
	v_mul_u32_u24_e32 v39, 0x90, v41
	v_add3_u32 v41, 0, v37, v38
	v_mul_f32_e32 v37, v26, v12
	v_add3_u32 v43, 0, v44, v38
	v_add3_u32 v44, 0, v45, v38
	;; [unrolled: 1-line block ×4, first 2 shown]
	v_fma_f32 v36, v3, v11, -v37
	v_dual_mul_f32 v37, v27, v14 :: v_dual_mul_f32 v38, v21, v16
	v_mul_f32_e32 v39, v22, v18
	v_sub_f32_e32 v77, v50, v52
	s_delay_alu instid0(VALU_DEP_4) | instskip(NEXT) | instid1(VALU_DEP_4)
	v_sub_f32_e32 v36, v46, v36
	v_fma_f32 v37, v4, v13, -v37
	v_fma_f32 v38, v1, v15, -v38
	;; [unrolled: 1-line block ×3, first 2 shown]
	v_sub_f32_e32 v76, v51, v53
	v_fma_f32 v46, v46, 2.0, -v36
	s_delay_alu instid0(VALU_DEP_4) | instskip(NEXT) | instid1(VALU_DEP_4)
	v_dual_sub_f32 v37, v47, v37 :: v_dual_sub_f32 v38, v48, v38
	v_sub_f32_e32 v75, v49, v39
	v_fma_f32 v80, v50, 2.0, -v77
	v_fma_f32 v78, v51, 2.0, -v76
	s_delay_alu instid0(VALU_DEP_4)
	v_fma_f32 v39, v47, 2.0, -v37
	v_fma_f32 v47, v48, 2.0, -v38
	;; [unrolled: 1-line block ×3, first 2 shown]
	ds_store_2addr_b32 v40, v46, v36 offset1:216
	ds_store_2addr_b32 v41, v39, v37 offset1:216
	;; [unrolled: 1-line block ×6, first 2 shown]
	global_wb scope:SCOPE_SE
	s_wait_dscnt 0x0
	s_barrier_signal -1
	s_barrier_wait -1
	global_inv scope:SCOPE_SE
	ds_load_b32 v64, v30
	ds_load_b32 v49, v30 offset:1728
	ds_load_b32 v48, v30 offset:3456
	;; [unrolled: 1-line block ×6, first 2 shown]
	s_and_saveexec_b32 s16, s2
	s_cbranch_execz .LBB0_12
; %bb.11:
	ds_load_b32 v80, v30 offset:2736
	ds_load_b32 v77, v30 offset:4464
	;; [unrolled: 1-line block ×5, first 2 shown]
	ds_load_b32 v75, v31
	ds_load_b32 v81, v30 offset:11376
.LBB0_12:
	s_wait_alu 0xfffe
	s_or_b32 exec_lo, exec_lo, s16
	v_dual_mul_f32 v0, v3, v12 :: v_dual_mul_f32 v3, v4, v14
	v_dual_mul_f32 v1, v1, v16 :: v_dual_mul_f32 v2, v2, v18
	;; [unrolled: 1-line block ×3, first 2 shown]
	s_delay_alu instid0(VALU_DEP_3) | instskip(NEXT) | instid1(VALU_DEP_3)
	v_dual_fmac_f32 v0, v26, v11 :: v_dual_fmac_f32 v3, v27, v13
	v_dual_fmac_f32 v1, v21, v15 :: v_dual_fmac_f32 v2, v22, v17
	s_delay_alu instid0(VALU_DEP_3) | instskip(NEXT) | instid1(VALU_DEP_3)
	v_fmac_f32_e32 v4, v19, v7
	v_dual_sub_f32 v0, v35, v0 :: v_dual_fmac_f32 v5, v20, v9
	s_delay_alu instid0(VALU_DEP_3) | instskip(NEXT) | instid1(VALU_DEP_3)
	v_dual_sub_f32 v3, v23, v3 :: v_dual_sub_f32 v82, v32, v2
	v_dual_sub_f32 v1, v28, v1 :: v_dual_sub_f32 v84, v33, v4
	s_delay_alu instid0(VALU_DEP_3) | instskip(NEXT) | instid1(VALU_DEP_4)
	v_sub_f32_e32 v83, v34, v5
	v_fma_f32 v6, v35, 2.0, -v0
	s_delay_alu instid0(VALU_DEP_4) | instskip(NEXT) | instid1(VALU_DEP_4)
	v_fma_f32 v2, v23, 2.0, -v3
	v_fma_f32 v4, v28, 2.0, -v1
	;; [unrolled: 1-line block ×5, first 2 shown]
	global_wb scope:SCOPE_SE
	s_wait_dscnt 0x0
	s_barrier_signal -1
	s_barrier_wait -1
	global_inv scope:SCOPE_SE
	ds_store_2addr_b32 v40, v6, v0 offset1:216
	ds_store_2addr_b32 v41, v2, v3 offset1:216
	;; [unrolled: 1-line block ×6, first 2 shown]
	global_wb scope:SCOPE_SE
	s_wait_dscnt 0x0
	s_barrier_signal -1
	s_barrier_wait -1
	global_inv scope:SCOPE_SE
	ds_load_b32 v65, v30
	ds_load_b32 v55, v30 offset:1728
	ds_load_b32 v54, v30 offset:3456
	;; [unrolled: 1-line block ×6, first 2 shown]
                                        ; implicit-def: $vgpr88
                                        ; implicit-def: $vgpr86
	s_and_saveexec_b32 s16, s2
	s_cbranch_execz .LBB0_14
; %bb.13:
	ds_load_b32 v87, v30 offset:2736
	ds_load_b32 v84, v30 offset:4464
	;; [unrolled: 1-line block ×5, first 2 shown]
	ds_load_b32 v82, v31
	ds_load_b32 v88, v30 offset:11376
.LBB0_14:
	s_wait_alu 0xfffe
	s_or_b32 exec_lo, exec_lo, s16
	v_and_b32_e32 v89, 0xffff, v72
	s_load_b64 s[0:1], s[0:1], 0x8
	s_and_not1_b32 vcc_lo, exec_lo, s3
	s_delay_alu instid0(VALU_DEP_1)
	v_mul_u32_u24_e32 v0, 6, v89
	v_mul_lo_u32 v1, v24, v89
	v_or_b32_e32 v91, 24, v89
	v_or_b32_e32 v95, 48, v89
	v_or_b32_e32 v94, 0x48, v89
	v_lshlrev_b32_e32 v0, 3, v0
	s_delay_alu instid0(VALU_DEP_4)
	v_mul_lo_u32 v2, v24, v91
	v_lshrrev_b32_e32 v4, 5, v1
	s_clause 0x2
	global_load_b128 v[12:15], v0, s[14:15] offset:48
	global_load_b128 v[16:19], v0, s[14:15] offset:64
	;; [unrolled: 1-line block ×3, first 2 shown]
	v_add_nc_u32_e32 v90, 12, v89
	v_and_b32_e32 v3, 0xff, v1
	v_add_nc_u32_e32 v92, 36, v89
	v_and_b32_e32 v4, 0x7f8, v4
	v_lshrrev_b32_e32 v9, 5, v2
	v_mul_lo_u32 v0, v24, v90
	v_lshlrev_b32_e32 v3, 3, v3
	v_mul_lo_u32 v5, v24, v92
	v_add_nc_u32_e32 v93, 60, v89
	v_lshrrev_b32_e32 v1, 13, v1
	v_and_b32_e32 v6, 0xff, v0
	v_lshrrev_b32_e32 v7, 5, v0
	s_delay_alu instid0(VALU_DEP_3) | instskip(SKIP_2) | instid1(VALU_DEP_1)
	v_and_b32_e32 v1, 0x7f8, v1
	v_lshrrev_b32_e32 v0, 13, v0
	s_wait_loadcnt 0x1
	v_dual_mul_f32 v133, v39, v17 :: v_dual_and_b32 v0, 0x7f8, v0
	v_and_b32_e32 v8, 0xff, v2
	s_wait_kmcnt 0x0
	s_clause 0x1
	global_load_b64 v[40:41], v3, s[0:1]
	global_load_b64 v[42:43], v4, s[0:1] offset:2048
	v_lshlrev_b32_e32 v3, 3, v6
	v_and_b32_e32 v4, 0x7f8, v7
	s_wait_dscnt 0x3
	v_dual_fmac_f32 v133, v53, v16 :: v_dual_and_b32 v6, 0xff, v5
	v_lshlrev_b32_e32 v7, 3, v8
	s_clause 0x1
	global_load_b64 v[44:45], v3, s[0:1]
	global_load_b64 v[46:47], v4, s[0:1] offset:2048
	v_and_b32_e32 v8, 0x7f8, v9
	v_lshrrev_b32_e32 v3, 5, v5
	s_clause 0x1
	global_load_b64 v[32:33], v7, s[0:1]
	global_load_b64 v[34:35], v8, s[0:1] offset:2048
	v_lshlrev_b32_e32 v4, 3, v6
	v_and_b32_e32 v3, 0x7f8, v3
	s_clause 0x1
	global_load_b64 v[56:57], v4, s[0:1]
	global_load_b64 v[58:59], v3, s[0:1] offset:2048
	v_lshrrev_b16 v3, 11, v29
	v_mul_lo_u32 v4, v24, v95
	v_mul_f32_e32 v134, v38, v19
	v_mul_lo_u32 v6, v24, v93
	v_mul_lo_u32 v7, v24, v94
	v_mul_lo_u16 v3, v3, 12
	s_wait_loadcnt 0x8
	v_mul_f32_e32 v138, v36, v23
	s_wait_dscnt 0x2
	v_fmac_f32_e32 v134, v52, v18
	v_lshrrev_b32_e32 v5, 13, v5
	v_and_b32_e32 v8, 0xff, v4
	v_sub_nc_u16 v3, v74, v3
	v_and_b32_e32 v10, 0xff, v6
	v_lshrrev_b32_e32 v9, 5, v4
	v_lshrrev_b32_e32 v11, 5, v6
	v_and_b32_e32 v26, 0xff, v7
	v_dual_mul_f32 v136, v37, v21 :: v_dual_and_b32 v3, 0xff, v3
	v_lshlrev_b32_e32 v8, 3, v8
	v_lshlrev_b32_e32 v10, 3, v10
	v_lshrrev_b32_e32 v27, 5, v7
	v_and_b32_e32 v9, 0x7f8, v9
	s_wait_dscnt 0x1
	v_dual_fmac_f32 v136, v51, v20 :: v_dual_and_b32 v11, 0x7f8, v11
	s_clause 0x1
	global_load_b64 v[66:67], v8, s[0:1]
	global_load_b64 v[68:69], v9, s[0:1] offset:2048
	v_lshlrev_b32_e32 v8, 3, v26
	s_clause 0x1
	global_load_b64 v[70:71], v10, s[0:1]
	global_load_b64 v[96:97], v11, s[0:1] offset:2048
	s_wait_dscnt 0x0
	v_dual_fmac_f32 v138, v50, v22 :: v_dual_and_b32 v9, 0x7f8, v27
	s_clause 0x1
	global_load_b64 v[60:61], v8, s[0:1]
	global_load_b64 v[62:63], v9, s[0:1] offset:2048
	v_lshrrev_b32_e32 v2, 13, v2
	v_lshrrev_b32_e32 v4, 13, v4
	;; [unrolled: 1-line block ×3, first 2 shown]
	v_and_b32_e32 v5, 0x7f8, v5
	v_add_nc_u32_e32 v10, 12, v3
	v_and_b32_e32 v2, 0x7f8, v2
	v_and_b32_e32 v4, 0x7f8, v4
	;; [unrolled: 1-line block ×3, first 2 shown]
	s_clause 0x5
	global_load_b64 v[98:99], v1, s[0:1] offset:4096
	global_load_b64 v[100:101], v0, s[0:1] offset:4096
	;; [unrolled: 1-line block ×6, first 2 shown]
	v_add_nc_u32_e32 v11, 24, v3
	v_mul_lo_u32 v9, v24, v3
	v_mul_u32_u24_e32 v8, 6, v3
	v_add_nc_u32_e32 v26, 36, v3
	v_or_b32_e32 v27, 48, v3
	v_add_nc_u32_e32 v28, 60, v3
	v_add_nc_u32_e32 v3, 0x48, v3
	v_mul_lo_u32 v30, v24, v10
	v_mul_lo_u32 v31, v24, v11
	v_lshrrev_b32_e32 v7, 13, v7
	v_and_b32_e32 v111, 0xff, v9
	v_mul_lo_u32 v26, v24, v26
	v_mul_lo_u32 v27, v24, v27
	;; [unrolled: 1-line block ×4, first 2 shown]
	v_lshrrev_b32_e32 v112, 5, v9
	v_lshrrev_b32_e32 v113, 13, v9
	v_and_b32_e32 v29, 0x7f8, v7
	v_lshlrev_b32_e32 v8, 3, v8
	v_and_b32_e32 v115, 0xff, v30
	v_lshrrev_b32_e32 v117, 13, v30
	v_lshrrev_b32_e32 v119, 5, v31
	v_lshlrev_b32_e32 v114, 3, v111
	v_and_b32_e32 v112, 0x7f8, v112
	v_and_b32_e32 v113, 0x7f8, v113
	s_clause 0x2
	global_load_b128 v[4:7], v8, s[14:15] offset:48
	global_load_b128 v[0:3], v8, s[14:15] offset:80
	global_load_b128 v[8:11], v8, s[14:15] offset:64
	v_lshrrev_b32_e32 v116, 5, v30
	v_and_b32_e32 v118, 0xff, v31
	v_lshrrev_b32_e32 v120, 13, v31
	v_and_b32_e32 v121, 0xff, v26
	v_lshrrev_b32_e32 v122, 5, v26
	v_lshrrev_b32_e32 v123, 13, v26
	v_and_b32_e32 v124, 0xff, v27
	v_lshrrev_b32_e32 v125, 5, v27
	;; [unrolled: 3-line block ×4, first 2 shown]
	v_lshrrev_b32_e32 v132, 13, v110
	s_clause 0x3
	global_load_b64 v[110:111], v29, s[0:1] offset:4096
	global_load_b64 v[28:29], v114, s[0:1]
	global_load_b64 v[30:31], v112, s[0:1] offset:2048
	global_load_b64 v[26:27], v113, s[0:1] offset:4096
	v_lshlrev_b32_e32 v112, 3, v115
	v_mul_f32_e32 v114, v55, v13
	v_and_b32_e32 v115, 0x7f8, v117
	v_and_b32_e32 v117, 0x7f8, v119
	v_mul_f32_e32 v119, v49, v13
	v_and_b32_e32 v113, 0x7f8, v116
	v_fma_f32 v114, v49, v12, -v114
	v_lshlrev_b32_e32 v116, 3, v118
	v_and_b32_e32 v118, 0x7f8, v120
	v_dual_fmac_f32 v119, v55, v12 :: v_dual_mul_f32 v12, v54, v15
	v_lshlrev_b32_e32 v49, 3, v121
	v_and_b32_e32 v120, 0x7f8, v122
	v_and_b32_e32 v121, 0x7f8, v123
	v_lshlrev_b32_e32 v122, 3, v124
	v_and_b32_e32 v123, 0x7f8, v125
	v_and_b32_e32 v124, 0x7f8, v126
	v_lshlrev_b32_e32 v125, 3, v127
	v_and_b32_e32 v126, 0x7f8, v128
	v_fma_f32 v127, v48, v14, -v12
	v_mul_f32_e32 v128, v48, v15
	v_dual_mul_f32 v12, v53, v17 :: v_dual_mul_f32 v13, v52, v19
	v_dual_mul_f32 v48, v51, v21 :: v_dual_mul_f32 v21, v50, v23
	s_delay_alu instid0(VALU_DEP_3) | instskip(NEXT) | instid1(VALU_DEP_3)
	v_fmac_f32_e32 v128, v54, v14
	v_fma_f32 v135, v39, v16, -v12
	s_delay_alu instid0(VALU_DEP_4)
	v_fma_f32 v137, v38, v18, -v13
	s_clause 0x3
	global_load_b64 v[16:17], v112, s[0:1]
	global_load_b64 v[18:19], v113, s[0:1] offset:2048
	global_load_b64 v[14:15], v115, s[0:1] offset:4096
	global_load_b64 v[12:13], v116, s[0:1]
	v_fma_f32 v112, v37, v20, -v48
	v_fma_f32 v113, v36, v22, -v21
	s_clause 0x3
	global_load_b64 v[36:37], v117, s[0:1] offset:2048
	global_load_b64 v[38:39], v118, s[0:1] offset:4096
	global_load_b64 v[50:51], v49, s[0:1]
	global_load_b64 v[54:55], v120, s[0:1] offset:2048
	s_wait_loadcnt 0x21
	v_mul_f32_e32 v20, v41, v43
	v_mul_f32_e32 v115, v40, v43
	s_delay_alu instid0(VALU_DEP_2) | instskip(SKIP_4) | instid1(VALU_DEP_3)
	v_fma_f32 v116, v40, v42, -v20
	s_wait_loadcnt 0x1f
	v_mul_f32_e32 v20, v45, v47
	v_mul_f32_e32 v117, v44, v47
	v_fmac_f32_e32 v115, v41, v42
	v_fma_f32 v120, v44, v46, -v20
	s_wait_loadcnt 0x1d
	v_mul_f32_e32 v21, v33, v35
	v_dual_mul_f32 v118, v32, v35 :: v_dual_fmac_f32 v117, v45, v46
	s_clause 0x3
	global_load_b64 v[46:47], v121, s[0:1] offset:4096
	global_load_b64 v[48:49], v122, s[0:1]
	global_load_b64 v[52:53], v123, s[0:1] offset:2048
	global_load_b64 v[40:41], v124, s[0:1] offset:4096
	v_add_f32_e32 v122, v128, v136
	s_wait_loadcnt 0x1f
	v_mul_f32_e32 v20, v57, v59
	v_mul_f32_e32 v59, v56, v59
	v_fma_f32 v121, v32, v34, -v21
	v_dual_fmac_f32 v118, v33, v34 :: v_dual_sub_f32 v123, v128, v136
	s_delay_alu instid0(VALU_DEP_4) | instskip(NEXT) | instid1(VALU_DEP_4)
	v_fma_f32 v56, v56, v58, -v20
	v_fmac_f32_e32 v59, v57, v58
	v_dual_add_f32 v57, v114, v113 :: v_dual_add_f32 v58, v119, v138
	v_dual_sub_f32 v113, v114, v113 :: v_dual_sub_f32 v114, v119, v138
	v_add_f32_e32 v119, v127, v112
	v_dual_sub_f32 v112, v127, v112 :: v_dual_add_f32 v127, v133, v134
	v_and_b32_e32 v129, 0x7f8, v129
	v_lshlrev_b32_e32 v130, 3, v130
	s_clause 0x3
	global_load_b64 v[42:43], v125, s[0:1]
	global_load_b64 v[44:45], v126, s[0:1] offset:2048
	global_load_b64 v[34:35], v129, s[0:1] offset:4096
	global_load_b64 v[22:23], v130, s[0:1]
	v_sub_f32_e32 v125, v137, v135
	v_dual_add_f32 v124, v135, v137 :: v_dual_and_b32 v131, 0x7f8, v131
	v_sub_f32_e32 v128, v134, v133
	s_wait_loadcnt 0x21
	v_mul_f32_e32 v126, v67, v69
	v_mul_f32_e32 v69, v66, v69
	s_wait_loadcnt 0x1f
	v_mul_f32_e32 v129, v71, v97
	s_delay_alu instid0(VALU_DEP_3) | instskip(NEXT) | instid1(VALU_DEP_3)
	v_fma_f32 v66, v66, v68, -v126
	v_fmac_f32_e32 v69, v67, v68
	s_wait_loadcnt 0x1d
	v_dual_mul_f32 v67, v70, v97 :: v_dual_mul_f32 v68, v61, v63
	v_mul_f32_e32 v63, v60, v63
	v_fma_f32 v70, v70, v96, -v129
	v_add_f32_e32 v129, v125, v112
	v_and_b32_e32 v132, 0x7f8, v132
	v_fma_f32 v60, v60, v62, -v68
	v_fmac_f32_e32 v63, v61, v62
	v_sub_f32_e32 v62, v125, v112
	s_wait_loadcnt 0x1c
	v_dual_sub_f32 v125, v113, v125 :: v_dual_mul_f32 v130, v115, v99
	v_mul_f32_e32 v99, v116, v99
	v_sub_f32_e32 v112, v112, v113
	v_add_f32_e32 v113, v129, v113
	s_clause 0x1
	global_load_b64 v[32:33], v131, s[0:1] offset:2048
	global_load_b64 v[20:21], v132, s[0:1] offset:4096
	v_add_f32_e32 v97, v119, v57
	v_fmac_f32_e32 v99, v98, v115
	v_fmac_f32_e32 v67, v71, v96
	v_dual_add_f32 v71, v122, v58 :: v_dual_sub_f32 v96, v119, v57
	v_sub_f32_e32 v119, v124, v119
	v_dual_add_f32 v61, v128, v123 :: v_dual_sub_f32 v126, v122, v58
	v_dual_sub_f32 v57, v57, v124 :: v_dual_sub_f32 v58, v58, v127
	v_sub_f32_e32 v122, v127, v122
	s_delay_alu instid0(VALU_DEP_3) | instskip(NEXT) | instid1(VALU_DEP_3)
	v_dual_sub_f32 v68, v128, v123 :: v_dual_add_f32 v61, v61, v114
	v_dual_sub_f32 v128, v114, v128 :: v_dual_mul_f32 v57, 0x3f4a47b2, v57
	v_sub_f32_e32 v123, v123, v114
	v_add_f32_e32 v71, v127, v71
	s_wait_loadcnt 0x1d
	v_dual_mul_f32 v114, 0x3d64c772, v119 :: v_dual_mul_f32 v129, v117, v101
	v_mul_f32_e32 v127, 0x3f5ff5aa, v112
	v_fma_f32 v116, v98, v116, -v130
	v_dual_mul_f32 v98, v120, v101 :: v_dual_mul_f32 v101, 0x3f5ff5aa, v123
	v_dual_add_f32 v97, v124, v97 :: v_dual_mul_f32 v58, 0x3f4a47b2, v58
	s_wait_loadcnt 0x1b
	v_dual_mul_f32 v115, v118, v105 :: v_dual_mul_f32 v124, 0x3d64c772, v122
	v_dual_mul_f32 v105, v121, v105 :: v_dual_mul_f32 v62, 0xbf08b237, v62
	v_mul_f32_e32 v68, 0xbf08b237, v68
	v_fma_f32 v120, v100, v120, -v129
	v_dual_fmac_f32 v98, v100, v117 :: v_dual_fmamk_f32 v119, v119, 0x3d64c772, v57
	v_mul_f32_e32 v100, v59, v103
	v_mul_f32_e32 v103, v56, v103
	s_wait_loadcnt 0x1a
	v_mul_f32_e32 v117, v69, v107
	v_fma_f32 v114, 0x3f3bfb3b, v96, -v114
	v_fma_f32 v57, 0xbf3bfb3b, v96, -v57
	v_dual_mul_f32 v96, v66, v107 :: v_dual_fmac_f32 v105, v104, v118
	v_fmamk_f32 v107, v122, 0x3d64c772, v58
	v_fma_f32 v122, 0x3f3bfb3b, v126, -v124
	v_fma_f32 v58, 0xbf3bfb3b, v126, -v58
	;; [unrolled: 1-line block ×3, first 2 shown]
	v_dual_fmamk_f32 v126, v128, 0x3eae86e6, v68 :: v_dual_add_f32 v65, v65, v71
	v_dual_add_f32 v64, v64, v97 :: v_dual_fmac_f32 v103, v102, v59
	s_wait_loadcnt 0x15
	v_mul_f32_e32 v68, v63, v111
	v_dual_mul_f32 v124, v67, v109 :: v_dual_mul_f32 v111, v60, v111
	v_fma_f32 v112, 0x3f5ff5aa, v112, -v62
	v_dual_fmamk_f32 v62, v125, 0x3eae86e6, v62 :: v_dual_mul_f32 v109, v70, v109
	v_fma_f32 v125, 0xbeae86e6, v125, -v127
	v_fma_f32 v101, 0xbeae86e6, v128, -v101
	;; [unrolled: 1-line block ×3, first 2 shown]
	v_fmamk_f32 v59, v97, 0xbf955555, v64
	v_fma_f32 v104, v110, v60, -v68
	v_fmamk_f32 v60, v71, 0xbf955555, v65
	v_fma_f32 v56, v102, v56, -v100
	v_fma_f32 v100, v106, v66, -v117
	v_dual_fmac_f32 v96, v106, v69 :: v_dual_fmac_f32 v109, v108, v67
	v_fma_f32 v102, v108, v70, -v124
	v_dual_fmac_f32 v111, v110, v63 :: v_dual_fmac_f32 v62, 0x3ee1c552, v113
	v_dual_fmac_f32 v126, 0x3ee1c552, v61 :: v_dual_mul_f32 v69, v64, v99
	v_dual_fmac_f32 v112, 0x3ee1c552, v113 :: v_dual_add_f32 v63, v119, v59
	v_fmac_f32_e32 v123, 0x3ee1c552, v61
	v_fmac_f32_e32 v101, 0x3ee1c552, v61
	v_dual_mul_f32 v61, v65, v99 :: v_dual_add_f32 v58, v58, v60
	v_dual_fmac_f32 v125, 0x3ee1c552, v113 :: v_dual_add_f32 v70, v122, v60
	v_dual_add_f32 v66, v107, v60 :: v_dual_add_f32 v67, v114, v59
	v_add_f32_e32 v57, v57, v59
	s_delay_alu instid0(VALU_DEP_4) | instskip(SKIP_1) | instid1(VALU_DEP_4)
	v_fma_f32 v68, v64, v116, -v61
	v_dual_fmac_f32 v69, v65, v116 :: v_dual_add_f32 v64, v126, v63
	v_sub_f32_e32 v60, v66, v62
	v_dual_sub_f32 v97, v58, v125 :: v_dual_add_f32 v106, v112, v70
	v_dual_sub_f32 v99, v67, v123 :: v_dual_sub_f32 v108, v70, v112
	v_dual_add_f32 v107, v123, v67 :: v_dual_add_f32 v110, v101, v57
	v_sub_f32_e32 v57, v57, v101
	v_add_f32_e32 v101, v125, v58
	v_sub_f32_e32 v112, v63, v126
	v_dual_add_f32 v113, v62, v66 :: v_dual_mul_f32 v62, v97, v105
	v_mul_f32_e32 v58, v60, v98
	v_mul_f32_e32 v71, v64, v98
	;; [unrolled: 1-line block ×6, first 2 shown]
	v_dual_mul_f32 v63, v107, v96 :: v_dual_mul_f32 v96, v101, v109
	v_mul_f32_e32 v59, v57, v109
	v_mul_f32_e32 v105, v113, v111
	;; [unrolled: 1-line block ×3, first 2 shown]
	v_fma_f32 v70, v64, v120, -v58
	v_fmac_f32_e32 v71, v60, v120
	v_fma_f32 v66, v110, v115, -v62
	v_fmac_f32_e32 v67, v97, v115
	;; [unrolled: 2-line block ×6, first 2 shown]
	s_wait_alu 0xfffe
	s_cbranch_vccnz .LBB0_16
; %bb.15:
	v_mad_co_u64_u32 v[56:57], null, s4, v73, 0
	v_mad_co_u64_u32 v[96:97], null, s8, v89, 0
	;; [unrolled: 1-line block ×3, first 2 shown]
	s_lshl_b64 s[0:1], s[6:7], 3
	s_delay_alu instid0(SALU_CYCLE_1) | instskip(NEXT) | instid1(VALU_DEP_3)
	s_add_nc_u64 s[0:1], s[12:13], s[0:1]
	v_mad_co_u64_u32 v[100:101], null, s5, v73, v[57:58]
	v_mad_co_u64_u32 v[101:102], null, s8, v91, 0
	s_delay_alu instid0(VALU_DEP_3) | instskip(NEXT) | instid1(VALU_DEP_2)
	v_mad_co_u64_u32 v[103:104], null, s9, v89, v[97:98]
	v_dual_mov_b32 v57, v100 :: v_dual_mov_b32 v100, v102
	s_delay_alu instid0(VALU_DEP_2) | instskip(NEXT) | instid1(VALU_DEP_2)
	v_mov_b32_e32 v97, v103
	v_lshlrev_b64_e32 v[56:57], 3, v[56:57]
	s_delay_alu instid0(VALU_DEP_3) | instskip(SKIP_2) | instid1(VALU_DEP_4)
	v_mad_co_u64_u32 v[102:103], null, s9, v90, v[99:100]
	v_mad_co_u64_u32 v[103:104], null, s9, v91, v[100:101]
	;; [unrolled: 1-line block ×3, first 2 shown]
	v_add_co_u32 v56, vcc_lo, s0, v56
	s_delay_alu instid0(VALU_DEP_4)
	v_mov_b32_e32 v99, v102
	s_wait_alu 0xfffd
	v_add_co_ci_u32_e32 v57, vcc_lo, s1, v57, vcc_lo
	v_mov_b32_e32 v102, v103
	v_lshlrev_b64_e32 v[96:97], 3, v[96:97]
	v_lshlrev_b64_e32 v[98:99], 3, v[98:99]
	s_and_b32 s0, s2, exec_lo
	s_delay_alu instid0(VALU_DEP_2) | instskip(SKIP_1) | instid1(VALU_DEP_3)
	v_add_co_u32 v96, vcc_lo, v56, v96
	s_wait_alu 0xfffd
	v_add_co_ci_u32_e32 v97, vcc_lo, v57, v97, vcc_lo
	global_store_b64 v[96:97], v[68:69], off
	v_add_co_u32 v96, vcc_lo, v56, v98
	s_wait_alu 0xfffd
	v_add_co_ci_u32_e32 v97, vcc_lo, v57, v99, vcc_lo
	v_lshlrev_b64_e32 v[98:99], 3, v[101:102]
	v_mad_co_u64_u32 v[100:101], null, s8, v95, 0
	global_store_b64 v[96:97], v[70:71], off
	v_mov_b32_e32 v96, v105
	v_add_co_u32 v97, vcc_lo, v56, v98
	s_wait_alu 0xfffd
	v_add_co_ci_u32_e32 v98, vcc_lo, v57, v99, vcc_lo
	v_mov_b32_e32 v99, v101
	s_delay_alu instid0(VALU_DEP_3)
	v_mad_co_u64_u32 v[101:102], null, s9, v92, v[96:97]
	v_mad_co_u64_u32 v[102:103], null, s8, v93, 0
	global_store_b64 v[97:98], v[66:67], off
	v_dual_mov_b32 v105, v101 :: v_dual_mov_b32 v96, v103
	v_mad_co_u64_u32 v[106:107], null, s9, v95, v[99:100]
	v_mad_co_u64_u32 v[107:108], null, s8, v94, 0
	s_delay_alu instid0(VALU_DEP_3) | instskip(NEXT) | instid1(VALU_DEP_3)
	v_lshlrev_b64_e32 v[97:98], 3, v[104:105]
	v_mov_b32_e32 v101, v106
	s_delay_alu instid0(VALU_DEP_3) | instskip(NEXT) | instid1(VALU_DEP_3)
	v_mov_b32_e32 v99, v108
	v_mad_co_u64_u32 v[103:104], null, s9, v93, v[96:97]
	s_delay_alu instid0(VALU_DEP_3) | instskip(SKIP_3) | instid1(VALU_DEP_3)
	v_lshlrev_b64_e32 v[100:101], 3, v[100:101]
	v_add_co_u32 v96, vcc_lo, v56, v97
	s_wait_alu 0xfffd
	v_add_co_ci_u32_e32 v97, vcc_lo, v57, v98, vcc_lo
	v_mad_co_u64_u32 v[104:105], null, s9, v94, v[99:100]
	v_add_co_u32 v98, vcc_lo, v56, v100
	s_wait_alu 0xfffd
	v_add_co_ci_u32_e32 v99, vcc_lo, v57, v101, vcc_lo
	global_store_b64 v[96:97], v[64:65], off
	v_lshlrev_b64_e32 v[96:97], 3, v[102:103]
	v_mov_b32_e32 v108, v104
	global_store_b64 v[98:99], v[62:63], off
	v_lshlrev_b64_e32 v[98:99], 3, v[107:108]
	v_add_co_u32 v96, vcc_lo, v56, v96
	s_wait_alu 0xfffd
	v_add_co_ci_u32_e32 v97, vcc_lo, v57, v97, vcc_lo
	s_delay_alu instid0(VALU_DEP_3)
	v_add_co_u32 v98, vcc_lo, v56, v98
	s_wait_alu 0xfffd
	v_add_co_ci_u32_e32 v99, vcc_lo, v57, v99, vcc_lo
	s_clause 0x1
	global_store_b64 v[96:97], v[58:59], off
	global_store_b64 v[98:99], v[60:61], off
	s_cbranch_execz .LBB0_17
	s_branch .LBB0_20
.LBB0_16:
	s_mov_b32 s0, 0
                                        ; implicit-def: $vgpr56_vgpr57
.LBB0_17:
	s_mov_b32 s1, exec_lo
                                        ; implicit-def: $vgpr56_vgpr57
	v_cmpx_gt_u64_e64 s[10:11], v[24:25]
	s_cbranch_execz .LBB0_19
; %bb.18:
	v_mad_co_u64_u32 v[24:25], null, s4, v73, 0
	v_mad_co_u64_u32 v[56:57], null, s8, v89, 0
	;; [unrolled: 1-line block ×3, first 2 shown]
	s_wait_alu 0xfffe
	s_and_not1_b32 s0, s0, exec_lo
	s_and_b32 s2, s2, exec_lo
	s_wait_loadcnt 0x12
	s_delay_alu instid0(VALU_DEP_3) | instskip(SKIP_4) | instid1(VALU_DEP_4)
	v_mad_co_u64_u32 v[98:99], null, s5, v73, v[25:26]
	v_mad_co_u64_u32 v[99:100], null, s8, v91, 0
	;; [unrolled: 1-line block ×3, first 2 shown]
	v_mov_b32_e32 v73, v97
	s_lshl_b64 s[4:5], s[6:7], 3
	v_mov_b32_e32 v25, v98
	s_wait_alu 0xfffe
	s_add_nc_u64 s[4:5], s[12:13], s[4:5]
	s_delay_alu instid0(VALU_DEP_4) | instskip(SKIP_3) | instid1(VALU_DEP_3)
	v_mov_b32_e32 v89, v100
	v_mad_co_u64_u32 v[97:98], null, s9, v90, v[73:74]
	v_mov_b32_e32 v57, v101
	s_or_b32 s0, s0, s2
	v_mad_co_u64_u32 v[89:90], null, s9, v91, v[89:90]
	s_delay_alu instid0(VALU_DEP_2) | instskip(NEXT) | instid1(VALU_DEP_2)
	v_lshlrev_b64_e32 v[90:91], 3, v[56:57]
	v_mov_b32_e32 v100, v89
	v_lshlrev_b64_e32 v[24:25], 3, v[24:25]
	s_wait_alu 0xfffe
	s_delay_alu instid0(VALU_DEP_1) | instskip(SKIP_1) | instid1(VALU_DEP_2)
	v_add_co_u32 v56, vcc_lo, s4, v24
	s_wait_alu 0xfffd
	v_add_co_ci_u32_e32 v57, vcc_lo, s5, v25, vcc_lo
	s_delay_alu instid0(VALU_DEP_2) | instskip(SKIP_1) | instid1(VALU_DEP_2)
	v_add_co_u32 v24, vcc_lo, v56, v90
	s_wait_alu 0xfffd
	v_add_co_ci_u32_e32 v25, vcc_lo, v57, v91, vcc_lo
	v_lshlrev_b64_e32 v[90:91], 3, v[96:97]
	v_mad_co_u64_u32 v[96:97], null, s8, v92, 0
	global_store_b64 v[24:25], v[68:69], off
	v_lshlrev_b64_e32 v[68:69], 3, v[99:100]
	v_mad_co_u64_u32 v[98:99], null, s8, v94, 0
	v_add_co_u32 v24, vcc_lo, v56, v90
	v_mad_co_u64_u32 v[89:90], null, s8, v95, 0
	s_wait_alu 0xfffd
	v_add_co_ci_u32_e32 v25, vcc_lo, v57, v91, vcc_lo
	v_add_co_u32 v68, vcc_lo, v56, v68
	s_wait_alu 0xfffd
	v_add_co_ci_u32_e32 v69, vcc_lo, v57, v69, vcc_lo
	global_store_b64 v[24:25], v[70:71], off
	v_dual_mov_b32 v24, v97 :: v_dual_mov_b32 v25, v90
	global_store_b64 v[68:69], v[66:67], off
	v_mad_co_u64_u32 v[70:71], null, s9, v92, v[24:25]
	v_mad_co_u64_u32 v[91:92], null, s8, v93, 0
	;; [unrolled: 1-line block ×3, first 2 shown]
	s_delay_alu instid0(VALU_DEP_3) | instskip(NEXT) | instid1(VALU_DEP_2)
	v_mov_b32_e32 v97, v70
	v_dual_mov_b32 v25, v92 :: v_dual_mov_b32 v90, v24
	v_mov_b32_e32 v24, v99
	s_delay_alu instid0(VALU_DEP_3) | instskip(NEXT) | instid1(VALU_DEP_3)
	v_lshlrev_b64_e32 v[66:67], 3, v[96:97]
	v_mad_co_u64_u32 v[68:69], null, s9, v93, v[25:26]
	s_delay_alu instid0(VALU_DEP_4) | instskip(NEXT) | instid1(VALU_DEP_4)
	v_lshlrev_b64_e32 v[69:70], 3, v[89:90]
	v_mad_co_u64_u32 v[24:25], null, s9, v94, v[24:25]
	s_delay_alu instid0(VALU_DEP_4)
	v_add_co_u32 v66, vcc_lo, v56, v66
	s_wait_alu 0xfffd
	v_add_co_ci_u32_e32 v67, vcc_lo, v57, v67, vcc_lo
	v_mov_b32_e32 v92, v68
	v_add_co_u32 v68, vcc_lo, v56, v69
	s_wait_alu 0xfffd
	v_add_co_ci_u32_e32 v69, vcc_lo, v57, v70, vcc_lo
	v_mov_b32_e32 v99, v24
	v_lshlrev_b64_e32 v[24:25], 3, v[91:92]
	s_clause 0x1
	global_store_b64 v[66:67], v[64:65], off
	global_store_b64 v[68:69], v[62:63], off
	v_lshlrev_b64_e32 v[62:63], 3, v[98:99]
	v_add_co_u32 v24, vcc_lo, v56, v24
	s_wait_alu 0xfffd
	v_add_co_ci_u32_e32 v25, vcc_lo, v57, v25, vcc_lo
	s_delay_alu instid0(VALU_DEP_3)
	v_add_co_u32 v62, vcc_lo, v56, v62
	s_wait_alu 0xfffd
	v_add_co_ci_u32_e32 v63, vcc_lo, v57, v63, vcc_lo
	s_clause 0x1
	global_store_b64 v[24:25], v[58:59], off
	global_store_b64 v[62:63], v[60:61], off
.LBB0_19:
	s_wait_alu 0xfffe
	s_or_b32 exec_lo, exec_lo, s1
.LBB0_20:
	s_wait_alu 0xfffe
	s_and_saveexec_b32 s1, s0
	s_cbranch_execnz .LBB0_22
; %bb.21:
	s_nop 0
	s_sendmsg sendmsg(MSG_DEALLOC_VGPRS)
	s_endpgm
.LBB0_22:
	v_dual_mul_f32 v24, v87, v5 :: v_dual_mul_f32 v25, v84, v7
	v_dual_mul_f32 v5, v80, v5 :: v_dual_mul_f32 v58, v83, v11
	v_mul_f32_e32 v7, v77, v7
	s_delay_alu instid0(VALU_DEP_3) | instskip(NEXT) | instid1(VALU_DEP_4)
	v_fma_f32 v24, v80, v4, -v24
	v_fma_f32 v25, v77, v6, -v25
	s_delay_alu instid0(VALU_DEP_4) | instskip(SKIP_1) | instid1(VALU_DEP_2)
	v_dual_fmac_f32 v5, v87, v4 :: v_dual_mul_f32 v4, v85, v9
	v_mul_f32_e32 v9, v78, v9
	v_fma_f32 v4, v78, v8, -v4
	s_delay_alu instid0(VALU_DEP_2) | instskip(NEXT) | instid1(VALU_DEP_1)
	v_dual_fmac_f32 v9, v85, v8 :: v_dual_mul_f32 v8, v88, v3
	v_fma_f32 v8, v81, v2, -v8
	v_mul_f32_e32 v3, v81, v3
	s_delay_alu instid0(VALU_DEP_1) | instskip(SKIP_4) | instid1(VALU_DEP_2)
	v_fmac_f32_e32 v3, v88, v2
	v_fmac_f32_e32 v7, v84, v6
	v_fma_f32 v6, v76, v10, -v58
	v_mul_f32_e32 v58, v86, v1
	v_mul_f32_e32 v1, v79, v1
	v_fma_f32 v2, v79, v0, -v58
	v_mul_f32_e32 v11, v76, v11
	s_delay_alu instid0(VALU_DEP_3) | instskip(SKIP_1) | instid1(VALU_DEP_3)
	v_fmac_f32_e32 v1, v86, v0
	v_add_f32_e32 v0, v24, v8
	v_dual_sub_f32 v8, v24, v8 :: v_dual_fmac_f32 v11, v83, v10
	v_add_f32_e32 v10, v5, v3
	s_delay_alu instid0(VALU_DEP_4)
	v_add_f32_e32 v24, v7, v1
	v_sub_f32_e32 v1, v7, v1
	v_dual_add_f32 v7, v4, v6 :: v_dual_sub_f32 v4, v6, v4
	v_sub_f32_e32 v3, v5, v3
	v_add_f32_e32 v5, v25, v2
	v_sub_f32_e32 v2, v25, v2
	s_delay_alu instid0(VALU_DEP_2) | instskip(NEXT) | instid1(VALU_DEP_2)
	v_sub_f32_e32 v58, v5, v0
	v_dual_add_f32 v25, v9, v11 :: v_dual_add_f32 v60, v4, v2
	v_dual_sub_f32 v6, v11, v9 :: v_dual_add_f32 v9, v5, v0
	v_sub_f32_e32 v62, v4, v2
	v_sub_f32_e32 v4, v8, v4
	;; [unrolled: 1-line block ×4, first 2 shown]
	v_add_f32_e32 v11, v24, v10
	v_sub_f32_e32 v5, v7, v5
	v_dual_sub_f32 v59, v24, v10 :: v_dual_sub_f32 v10, v10, v25
	v_dual_add_f32 v7, v7, v9 :: v_dual_sub_f32 v24, v25, v24
	v_add_f32_e32 v61, v6, v1
	v_dual_sub_f32 v63, v6, v1 :: v_dual_add_f32 v8, v60, v8
	v_dual_sub_f32 v1, v1, v3 :: v_dual_mul_f32 v64, 0x3f5ff5aa, v2
	v_dual_mul_f32 v0, 0x3f4a47b2, v0 :: v_dual_add_f32 v9, v25, v11
	v_mul_f32_e32 v62, 0xbf08b237, v62
	v_dual_mul_f32 v10, 0x3f4a47b2, v10 :: v_dual_add_f32 v11, v75, v7
	s_delay_alu instid0(VALU_DEP_3) | instskip(SKIP_2) | instid1(VALU_DEP_3)
	v_dual_mul_f32 v60, 0x3d64c772, v5 :: v_dual_fmamk_f32 v5, v5, 0x3d64c772, v0
	v_fma_f32 v0, 0xbf3bfb3b, v58, -v0
	v_dual_sub_f32 v6, v3, v6 :: v_dual_add_f32 v3, v61, v3
	v_fma_f32 v60, 0x3f3bfb3b, v58, -v60
	v_fmamk_f32 v58, v4, 0x3eae86e6, v62
	v_fmamk_f32 v7, v7, 0xbf955555, v11
	v_add_f32_e32 v25, v82, v9
	v_fma_f32 v4, 0xbeae86e6, v4, -v64
	v_fma_f32 v2, 0x3f5ff5aa, v2, -v62
	s_delay_alu instid0(VALU_DEP_4) | instskip(NEXT) | instid1(VALU_DEP_3)
	v_dual_mul_f32 v65, 0x3f5ff5aa, v1 :: v_dual_add_f32 v60, v60, v7
	v_fmac_f32_e32 v4, 0x3ee1c552, v8
	v_fmamk_f32 v9, v9, 0xbf955555, v25
	v_dual_mul_f32 v61, 0x3d64c772, v24 :: v_dual_fmamk_f32 v24, v24, 0x3d64c772, v10
	v_fmac_f32_e32 v58, 0x3ee1c552, v8
	v_fmac_f32_e32 v2, 0x3ee1c552, v8
	v_fma_f32 v10, 0xbf3bfb3b, v59, -v10
	s_delay_alu instid0(VALU_DEP_4) | instskip(SKIP_1) | instid1(VALU_DEP_2)
	v_dual_add_f32 v24, v24, v9 :: v_dual_mul_f32 v63, 0xbf08b237, v63
	v_fma_f32 v61, 0x3f3bfb3b, v59, -v61
	v_sub_f32_e32 v8, v24, v58
	s_delay_alu instid0(VALU_DEP_3) | instskip(NEXT) | instid1(VALU_DEP_1)
	v_fma_f32 v1, 0x3f5ff5aa, v1, -v63
	v_fmac_f32_e32 v1, 0x3ee1c552, v3
	s_delay_alu instid0(VALU_DEP_1) | instskip(SKIP_3) | instid1(VALU_DEP_4)
	v_dual_fmamk_f32 v59, v6, 0x3eae86e6, v63 :: v_dual_sub_f32 v62, v60, v1
	v_add_f32_e32 v60, v1, v60
	v_add_f32_e32 v0, v0, v7
	v_fma_f32 v6, 0xbeae86e6, v6, -v65
	v_fmac_f32_e32 v59, 0x3ee1c552, v3
	s_wait_loadcnt 0x13
	v_dual_mul_f32 v1, v29, v31 :: v_dual_add_f32 v24, v58, v24
	s_delay_alu instid0(VALU_DEP_3) | instskip(NEXT) | instid1(VALU_DEP_2)
	v_fmac_f32_e32 v6, 0x3ee1c552, v3
	v_fma_f32 v1, v28, v30, -v1
	s_delay_alu instid0(VALU_DEP_2) | instskip(SKIP_1) | instid1(VALU_DEP_1)
	v_dual_sub_f32 v64, v0, v6 :: v_dual_add_f32 v5, v5, v7
	v_add_f32_e32 v7, v10, v9
	v_dual_sub_f32 v10, v7, v4 :: v_dual_add_f32 v61, v61, v9
	v_dual_add_f32 v9, v6, v0 :: v_dual_mul_f32 v0, v28, v31
	s_delay_alu instid0(VALU_DEP_2)
	v_add_f32_e32 v63, v2, v61
	v_sub_f32_e32 v61, v61, v2
	s_wait_loadcnt 0x10
	v_mul_f32_e32 v2, v17, v19
	v_add_f32_e32 v28, v4, v7
	v_mul_f32_e32 v4, v16, v19
	s_delay_alu instid0(VALU_DEP_3) | instskip(SKIP_1) | instid1(VALU_DEP_1)
	v_fma_f32 v2, v16, v18, -v2
	s_wait_loadcnt 0xf
	v_dual_fmac_f32 v0, v29, v30 :: v_dual_mul_f32 v7, v2, v15
	s_delay_alu instid0(VALU_DEP_3) | instskip(SKIP_3) | instid1(VALU_DEP_3)
	v_fmac_f32_e32 v4, v17, v18
	v_dual_mul_f32 v6, v1, v27 :: v_dual_add_nc_u32 v17, 19, v72
	s_wait_loadcnt 0x1
	v_mul_f32_e32 v18, v22, v33
	v_fmac_f32_e32 v7, v14, v4
	s_delay_alu instid0(VALU_DEP_3) | instskip(SKIP_3) | instid1(VALU_DEP_4)
	v_dual_fmac_f32 v6, v26, v0 :: v_dual_add_f32 v3, v59, v5
	v_sub_f32_e32 v29, v5, v59
	v_mul_f32_e32 v5, v0, v27
	v_mul_f32_e32 v0, v4, v15
	;; [unrolled: 1-line block ×3, first 2 shown]
	s_delay_alu instid0(VALU_DEP_3) | instskip(SKIP_1) | instid1(VALU_DEP_4)
	v_fma_f32 v5, v26, v1, -v5
	v_mul_f32_e32 v1, v11, v6
	v_fma_f32 v6, v14, v2, -v0
	v_mul_f32_e32 v2, v13, v37
	v_mul_f32_e32 v14, v8, v7
	v_fma_f32 v0, v11, v5, -v4
	v_fmac_f32_e32 v1, v25, v5
	v_mul_f32_e32 v4, v12, v37
	v_fma_f32 v5, v12, v36, -v2
	v_mul_f32_e32 v11, v51, v55
	v_fma_f32 v2, v3, v6, -v14
	s_delay_alu instid0(VALU_DEP_4) | instskip(SKIP_3) | instid1(VALU_DEP_4)
	v_dual_mul_f32 v3, v3, v7 :: v_dual_fmac_f32 v4, v13, v36
	v_mul_f32_e32 v12, v50, v55
	v_mul_f32_e32 v7, v5, v39
	v_fma_f32 v11, v50, v54, -v11
	v_fmac_f32_e32 v3, v8, v6
	s_delay_alu instid0(VALU_DEP_4) | instskip(NEXT) | instid1(VALU_DEP_3)
	v_dual_mul_f32 v13, v4, v39 :: v_dual_fmac_f32 v12, v51, v54
	v_dual_fmac_f32 v7, v38, v4 :: v_dual_mul_f32 v8, v11, v47
	v_mul_f32_e32 v4, v49, v53
	s_delay_alu instid0(VALU_DEP_3) | instskip(NEXT) | instid1(VALU_DEP_3)
	v_fma_f32 v6, v38, v5, -v13
	v_dual_mul_f32 v5, v9, v7 :: v_dual_add_nc_u32 v26, 0x4f, v72
	v_mul_f32_e32 v14, v12, v47
	v_fmac_f32_e32 v8, v46, v12
	v_dual_mul_f32 v13, v10, v7 :: v_dual_mul_f32 v12, v48, v53
	v_fma_f32 v15, v48, v52, -v4
	v_fmac_f32_e32 v5, v10, v6
	v_fma_f32 v11, v46, v11, -v14
	v_mul_f32_e32 v7, v63, v8
	v_fmac_f32_e32 v12, v49, v52
	v_mul_f32_e32 v14, v15, v41
	v_fma_f32 v4, v9, v6, -v13
	s_delay_alu instid0(VALU_DEP_4) | instskip(SKIP_2) | instid1(VALU_DEP_2)
	v_fma_f32 v6, v62, v11, -v7
	v_mul_f32_e32 v7, v62, v8
	v_mul_f32_e32 v9, v12, v41
	v_dual_fmac_f32 v14, v40, v12 :: v_dual_fmac_f32 v7, v63, v11
	s_delay_alu instid0(VALU_DEP_1) | instskip(NEXT) | instid1(VALU_DEP_1)
	v_dual_mul_f32 v12, v42, v45 :: v_dual_mul_f32 v13, v61, v14
	v_fmac_f32_e32 v12, v43, v44
	s_delay_alu instid0(VALU_DEP_4) | instskip(SKIP_2) | instid1(VALU_DEP_2)
	v_fma_f32 v10, v40, v15, -v9
	v_dual_mul_f32 v9, v60, v14 :: v_dual_mul_f32 v8, v43, v45
	v_mul_f32_e32 v15, v23, v33
	v_fmac_f32_e32 v9, v61, v10
	s_delay_alu instid0(VALU_DEP_3) | instskip(SKIP_3) | instid1(VALU_DEP_4)
	v_fma_f32 v14, v42, v44, -v8
	v_fma_f32 v8, v60, v10, -v13
	v_mad_co_u64_u32 v[10:11], null, s8, v74, 0
	v_fma_f32 v25, v22, v32, -v15
	v_mul_f32_e32 v16, v14, v35
	s_delay_alu instid0(VALU_DEP_1) | instskip(NEXT) | instid1(VALU_DEP_1)
	v_dual_mul_f32 v13, v12, v35 :: v_dual_fmac_f32 v16, v34, v12
	v_fma_f32 v19, v34, v14, -v13
	v_mad_co_u64_u32 v[12:13], null, s8, v17, 0
	v_fmac_f32_e32 v18, v23, v32
	s_wait_loadcnt 0x0
	v_dual_mul_f32 v22, v28, v16 :: v_dual_mul_f32 v23, v25, v21
	v_mul_f32_e32 v16, v64, v16
	s_delay_alu instid0(VALU_DEP_4)
	v_mad_co_u64_u32 v[14:15], null, s9, v74, v[11:12]
	v_mov_b32_e32 v11, v13
	v_mul_f32_e32 v13, v18, v21
	v_fmac_f32_e32 v23, v20, v18
	v_fma_f32 v15, v64, v19, -v22
	v_add_nc_u32_e32 v22, 31, v72
	v_mad_co_u64_u32 v[17:18], null, s9, v17, v[11:12]
	v_dual_mov_b32 v11, v14 :: v_dual_fmac_f32 v16, v28, v19
	v_fma_f32 v14, v20, v25, -v13
	s_delay_alu instid0(VALU_DEP_4) | instskip(NEXT) | instid1(VALU_DEP_3)
	v_mad_co_u64_u32 v[19:20], null, s8, v22, 0
	v_lshlrev_b64_e32 v[10:11], 3, v[10:11]
	v_mul_f32_e32 v21, v24, v23
	v_mul_f32_e32 v18, v29, v23
	v_mov_b32_e32 v13, v17
	s_delay_alu instid0(VALU_DEP_4) | instskip(SKIP_4) | instid1(VALU_DEP_1)
	v_add_co_u32 v10, vcc_lo, v56, v10
	s_wait_alu 0xfffd
	v_add_co_ci_u32_e32 v11, vcc_lo, v57, v11, vcc_lo
	global_store_b64 v[10:11], v[0:1], off
	v_mov_b32_e32 v0, v20
	v_mad_co_u64_u32 v[0:1], null, s9, v22, v[0:1]
	v_add_nc_u32_e32 v22, 55, v72
	v_fma_f32 v17, v29, v14, -v21
	v_dual_fmac_f32 v18, v24, v14 :: v_dual_add_nc_u32 v21, 43, v72
	v_lshlrev_b64_e32 v[12:13], 3, v[12:13]
	v_add_nc_u32_e32 v24, 0x43, v72
	v_mov_b32_e32 v20, v0
	s_delay_alu instid0(VALU_DEP_3) | instskip(SKIP_1) | instid1(VALU_DEP_4)
	v_add_co_u32 v10, vcc_lo, v56, v12
	s_wait_alu 0xfffd
	v_add_co_ci_u32_e32 v11, vcc_lo, v57, v13, vcc_lo
	v_mad_co_u64_u32 v[12:13], null, s8, v21, 0
	global_store_b64 v[10:11], v[2:3], off
	v_mad_co_u64_u32 v[1:2], null, s8, v22, 0
	v_mad_co_u64_u32 v[10:11], null, s8, v24, 0
	v_mov_b32_e32 v0, v13
	v_lshlrev_b64_e32 v[13:14], 3, v[19:20]
	s_delay_alu instid0(VALU_DEP_4) | instskip(NEXT) | instid1(VALU_DEP_3)
	v_mad_co_u64_u32 v[2:3], null, s9, v22, v[2:3]
	v_mad_co_u64_u32 v[19:20], null, s9, v21, v[0:1]
	;; [unrolled: 1-line block ×3, first 2 shown]
	v_mov_b32_e32 v0, v11
	v_add_co_u32 v22, vcc_lo, v56, v13
	s_wait_alu 0xfffd
	v_add_co_ci_u32_e32 v23, vcc_lo, v57, v14, vcc_lo
	s_delay_alu instid0(VALU_DEP_3)
	v_mad_co_u64_u32 v[24:25], null, s9, v24, v[0:1]
	v_lshlrev_b64_e32 v[1:2], 3, v[1:2]
	v_dual_mov_b32 v13, v19 :: v_dual_mov_b32 v0, v21
	global_store_b64 v[22:23], v[4:5], off
	v_mov_b32_e32 v11, v24
	v_lshlrev_b64_e32 v[3:4], 3, v[12:13]
	v_mad_co_u64_u32 v[12:13], null, s9, v26, v[0:1]
	s_delay_alu instid0(VALU_DEP_3) | instskip(NEXT) | instid1(VALU_DEP_3)
	v_lshlrev_b64_e32 v[10:11], 3, v[10:11]
	v_add_co_u32 v3, vcc_lo, v56, v3
	s_wait_alu 0xfffd
	s_delay_alu instid0(VALU_DEP_4) | instskip(NEXT) | instid1(VALU_DEP_4)
	v_add_co_ci_u32_e32 v4, vcc_lo, v57, v4, vcc_lo
	v_mov_b32_e32 v21, v12
	v_add_co_u32 v0, vcc_lo, v56, v1
	s_wait_alu 0xfffd
	v_add_co_ci_u32_e32 v1, vcc_lo, v57, v2, vcc_lo
	s_delay_alu instid0(VALU_DEP_3) | instskip(SKIP_3) | instid1(VALU_DEP_3)
	v_lshlrev_b64_e32 v[12:13], 3, v[20:21]
	v_add_co_u32 v10, vcc_lo, v56, v10
	s_wait_alu 0xfffd
	v_add_co_ci_u32_e32 v11, vcc_lo, v57, v11, vcc_lo
	v_add_co_u32 v12, vcc_lo, v56, v12
	s_wait_alu 0xfffd
	v_add_co_ci_u32_e32 v13, vcc_lo, v57, v13, vcc_lo
	s_clause 0x3
	global_store_b64 v[3:4], v[6:7], off
	global_store_b64 v[0:1], v[8:9], off
	;; [unrolled: 1-line block ×4, first 2 shown]
	s_nop 0
	s_sendmsg sendmsg(MSG_DEALLOC_VGPRS)
	s_endpgm
	.section	.rodata,"a",@progbits
	.p2align	6, 0x0
	.amdhsa_kernel fft_rtc_fwd_len84_factors_6_2_7_wgs_252_tpt_7_halfLds_dim2_sp_ip_CI_sbcc_twdbase8_3step_dirReg
		.amdhsa_group_segment_fixed_size 0
		.amdhsa_private_segment_fixed_size 0
		.amdhsa_kernarg_size 88
		.amdhsa_user_sgpr_count 2
		.amdhsa_user_sgpr_dispatch_ptr 0
		.amdhsa_user_sgpr_queue_ptr 0
		.amdhsa_user_sgpr_kernarg_segment_ptr 1
		.amdhsa_user_sgpr_dispatch_id 0
		.amdhsa_user_sgpr_private_segment_size 0
		.amdhsa_wavefront_size32 1
		.amdhsa_uses_dynamic_stack 0
		.amdhsa_enable_private_segment 0
		.amdhsa_system_sgpr_workgroup_id_x 1
		.amdhsa_system_sgpr_workgroup_id_y 0
		.amdhsa_system_sgpr_workgroup_id_z 0
		.amdhsa_system_sgpr_workgroup_info 0
		.amdhsa_system_vgpr_workitem_id 0
		.amdhsa_next_free_vgpr 139
		.amdhsa_next_free_sgpr 24
		.amdhsa_reserve_vcc 1
		.amdhsa_float_round_mode_32 0
		.amdhsa_float_round_mode_16_64 0
		.amdhsa_float_denorm_mode_32 3
		.amdhsa_float_denorm_mode_16_64 3
		.amdhsa_fp16_overflow 0
		.amdhsa_workgroup_processor_mode 1
		.amdhsa_memory_ordered 1
		.amdhsa_forward_progress 0
		.amdhsa_round_robin_scheduling 0
		.amdhsa_exception_fp_ieee_invalid_op 0
		.amdhsa_exception_fp_denorm_src 0
		.amdhsa_exception_fp_ieee_div_zero 0
		.amdhsa_exception_fp_ieee_overflow 0
		.amdhsa_exception_fp_ieee_underflow 0
		.amdhsa_exception_fp_ieee_inexact 0
		.amdhsa_exception_int_div_zero 0
	.end_amdhsa_kernel
	.text
.Lfunc_end0:
	.size	fft_rtc_fwd_len84_factors_6_2_7_wgs_252_tpt_7_halfLds_dim2_sp_ip_CI_sbcc_twdbase8_3step_dirReg, .Lfunc_end0-fft_rtc_fwd_len84_factors_6_2_7_wgs_252_tpt_7_halfLds_dim2_sp_ip_CI_sbcc_twdbase8_3step_dirReg
                                        ; -- End function
	.section	.AMDGPU.csdata,"",@progbits
; Kernel info:
; codeLenInByte = 10044
; NumSgprs: 26
; NumVgprs: 139
; ScratchSize: 0
; MemoryBound: 0
; FloatMode: 240
; IeeeMode: 1
; LDSByteSize: 0 bytes/workgroup (compile time only)
; SGPRBlocks: 3
; VGPRBlocks: 17
; NumSGPRsForWavesPerEU: 26
; NumVGPRsForWavesPerEU: 139
; Occupancy: 10
; WaveLimiterHint : 1
; COMPUTE_PGM_RSRC2:SCRATCH_EN: 0
; COMPUTE_PGM_RSRC2:USER_SGPR: 2
; COMPUTE_PGM_RSRC2:TRAP_HANDLER: 0
; COMPUTE_PGM_RSRC2:TGID_X_EN: 1
; COMPUTE_PGM_RSRC2:TGID_Y_EN: 0
; COMPUTE_PGM_RSRC2:TGID_Z_EN: 0
; COMPUTE_PGM_RSRC2:TIDIG_COMP_CNT: 0
	.text
	.p2alignl 7, 3214868480
	.fill 96, 4, 3214868480
	.type	__hip_cuid_5beb8304f5f01222,@object ; @__hip_cuid_5beb8304f5f01222
	.section	.bss,"aw",@nobits
	.globl	__hip_cuid_5beb8304f5f01222
__hip_cuid_5beb8304f5f01222:
	.byte	0                               ; 0x0
	.size	__hip_cuid_5beb8304f5f01222, 1

	.ident	"AMD clang version 19.0.0git (https://github.com/RadeonOpenCompute/llvm-project roc-6.4.0 25133 c7fe45cf4b819c5991fe208aaa96edf142730f1d)"
	.section	".note.GNU-stack","",@progbits
	.addrsig
	.addrsig_sym __hip_cuid_5beb8304f5f01222
	.amdgpu_metadata
---
amdhsa.kernels:
  - .args:
      - .actual_access:  read_only
        .address_space:  global
        .offset:         0
        .size:           8
        .value_kind:     global_buffer
      - .address_space:  global
        .offset:         8
        .size:           8
        .value_kind:     global_buffer
      - .actual_access:  read_only
        .address_space:  global
        .offset:         16
        .size:           8
        .value_kind:     global_buffer
      - .actual_access:  read_only
        .address_space:  global
        .offset:         24
        .size:           8
        .value_kind:     global_buffer
      - .offset:         32
        .size:           8
        .value_kind:     by_value
      - .actual_access:  read_only
        .address_space:  global
        .offset:         40
        .size:           8
        .value_kind:     global_buffer
      - .actual_access:  read_only
        .address_space:  global
        .offset:         48
        .size:           8
        .value_kind:     global_buffer
      - .offset:         56
        .size:           4
        .value_kind:     by_value
      - .actual_access:  read_only
        .address_space:  global
        .offset:         64
        .size:           8
        .value_kind:     global_buffer
      - .actual_access:  read_only
        .address_space:  global
        .offset:         72
        .size:           8
        .value_kind:     global_buffer
      - .address_space:  global
        .offset:         80
        .size:           8
        .value_kind:     global_buffer
    .group_segment_fixed_size: 0
    .kernarg_segment_align: 8
    .kernarg_segment_size: 88
    .language:       OpenCL C
    .language_version:
      - 2
      - 0
    .max_flat_workgroup_size: 252
    .name:           fft_rtc_fwd_len84_factors_6_2_7_wgs_252_tpt_7_halfLds_dim2_sp_ip_CI_sbcc_twdbase8_3step_dirReg
    .private_segment_fixed_size: 0
    .sgpr_count:     26
    .sgpr_spill_count: 0
    .symbol:         fft_rtc_fwd_len84_factors_6_2_7_wgs_252_tpt_7_halfLds_dim2_sp_ip_CI_sbcc_twdbase8_3step_dirReg.kd
    .uniform_work_group_size: 1
    .uses_dynamic_stack: false
    .vgpr_count:     139
    .vgpr_spill_count: 0
    .wavefront_size: 32
    .workgroup_processor_mode: 1
amdhsa.target:   amdgcn-amd-amdhsa--gfx1201
amdhsa.version:
  - 1
  - 2
...

	.end_amdgpu_metadata
